;; amdgpu-corpus repo=ROCm/rocFFT kind=compiled arch=gfx950 opt=O3
	.text
	.amdgcn_target "amdgcn-amd-amdhsa--gfx950"
	.amdhsa_code_object_version 6
	.protected	bluestein_single_fwd_len231_dim1_dp_op_CI_CI ; -- Begin function bluestein_single_fwd_len231_dim1_dp_op_CI_CI
	.globl	bluestein_single_fwd_len231_dim1_dp_op_CI_CI
	.p2align	8
	.type	bluestein_single_fwd_len231_dim1_dp_op_CI_CI,@function
bluestein_single_fwd_len231_dim1_dp_op_CI_CI: ; @bluestein_single_fwd_len231_dim1_dp_op_CI_CI
; %bb.0:
	s_load_dwordx4 s[8:11], s[0:1], 0x28
	v_mul_u32_u24_e32 v1, 0x7c2, v0
	v_lshrrev_b32_e32 v2, 16, v1
	v_mad_u64_u32 v[110:111], s[2:3], s2, 7, v[2:3]
	v_mov_b32_e32 v203, 0
	v_mov_b32_e32 v111, v203
	s_waitcnt lgkmcnt(0)
	v_cmp_gt_u64_e32 vcc, s[8:9], v[110:111]
	s_and_saveexec_b64 s[2:3], vcc
	s_cbranch_execz .LBB0_23
; %bb.1:
	v_mul_lo_u16_e32 v1, 33, v2
	s_mov_b32 s4, 0x24924925
	v_sub_u16_e32 v202, v0, v1
	v_mul_hi_u32 v0, v110, s4
	v_sub_u32_e32 v1, v110, v0
	v_lshrrev_b32_e32 v1, 1, v1
	v_add_u32_e32 v0, v1, v0
	s_load_dwordx2 s[2:3], s[0:1], 0x0
	s_load_dwordx2 s[8:9], s[0:1], 0x38
	v_lshrrev_b32_e32 v0, 2, v0
	v_mul_lo_u32 v0, v0, 7
	v_sub_u32_e32 v0, v110, v0
	v_mul_u32_u24_e32 v192, 0xe7, v0
	v_cmp_gt_u16_e32 vcc, 21, v202
	v_lshlrev_b32_e32 v111, 4, v202
	v_lshlrev_b32_e32 v193, 4, v192
	s_and_saveexec_b64 s[12:13], vcc
	s_cbranch_execz .LBB0_3
; %bb.2:
	s_load_dwordx2 s[4:5], s[0:1], 0x18
	v_mov_b32_e32 v0, s10
	v_mov_b32_e32 v1, s11
	;; [unrolled: 1-line block ×3, first 2 shown]
	v_lshl_add_u32 v92, v202, 4, v193
	s_waitcnt lgkmcnt(0)
	s_load_dwordx4 s[4:7], s[4:5], 0x0
	v_add_u32_e32 v93, v193, v111
	s_waitcnt lgkmcnt(0)
	v_mad_u64_u32 v[2:3], s[10:11], s6, v110, 0
	v_mad_u64_u32 v[4:5], s[10:11], s4, v202, 0
	v_mov_b32_e32 v6, v3
	v_mov_b32_e32 v8, v5
	v_mad_u64_u32 v[6:7], s[6:7], s7, v110, v[6:7]
	v_mov_b32_e32 v3, v6
	v_mad_u64_u32 v[6:7], s[6:7], s5, v202, v[8:9]
	v_mov_b32_e32 v5, v6
	v_lshl_add_u64 v[0:1], v[2:3], 4, v[0:1]
	v_lshl_add_u64 v[4:5], v[4:5], 4, v[0:1]
	v_mad_u64_u32 v[16:17], s[6:7], s4, v86, v[4:5]
	s_mulk_i32 s5, 0x150
	v_add_u32_e32 v17, s5, v17
	v_mad_u64_u32 v[28:29], s[6:7], s4, v86, v[16:17]
	global_load_dwordx4 v[0:3], v[4:5], off
	v_add_u32_e32 v29, s5, v29
	global_load_dwordx4 v[4:7], v111, s[2:3]
	global_load_dwordx4 v[8:11], v111, s[2:3] offset:336
	global_load_dwordx4 v[12:15], v[16:17], off
	v_mad_u64_u32 v[32:33], s[6:7], s4, v86, v[28:29]
	v_add_u32_e32 v33, s5, v33
	global_load_dwordx4 v[16:19], v[28:29], off
	global_load_dwordx4 v[20:23], v111, s[2:3] offset:672
	global_load_dwordx4 v[24:27], v111, s[2:3] offset:1008
	v_mad_u64_u32 v[44:45], s[6:7], s4, v86, v[32:33]
	global_load_dwordx4 v[28:31], v[32:33], off
	v_add_u32_e32 v45, s5, v45
	v_mad_u64_u32 v[48:49], s[6:7], s4, v86, v[44:45]
	global_load_dwordx4 v[32:35], v[44:45], off
	global_load_dwordx4 v[36:39], v111, s[2:3] offset:1344
	global_load_dwordx4 v[40:43], v111, s[2:3] offset:1680
	v_add_u32_e32 v49, s5, v49
	global_load_dwordx4 v[44:47], v[48:49], off
	v_mad_u64_u32 v[60:61], s[6:7], s4, v86, v[48:49]
	v_add_u32_e32 v61, s5, v61
	v_mad_u64_u32 v[64:65], s[6:7], s4, v86, v[60:61]
	global_load_dwordx4 v[48:51], v[60:61], off
	global_load_dwordx4 v[52:55], v111, s[2:3] offset:2016
	global_load_dwordx4 v[56:59], v111, s[2:3] offset:2352
	v_add_u32_e32 v65, s5, v65
	global_load_dwordx4 v[60:63], v[64:65], off
	v_mad_u64_u32 v[76:77], s[6:7], s4, v86, v[64:65]
	v_add_u32_e32 v77, s5, v77
	v_mad_u64_u32 v[84:85], s[6:7], s4, v86, v[76:77]
	global_load_dwordx4 v[64:67], v[76:77], off
	global_load_dwordx4 v[68:71], v111, s[2:3] offset:2688
	global_load_dwordx4 v[72:75], v111, s[2:3] offset:3024
	v_add_u32_e32 v85, s5, v85
	global_load_dwordx4 v[76:79], v[84:85], off
	global_load_dwordx4 v[80:83], v111, s[2:3] offset:3360
	v_mad_u64_u32 v[84:85], s[6:7], s4, v86, v[84:85]
	v_add_u32_e32 v85, s5, v85
	global_load_dwordx4 v[84:87], v[84:85], off
	s_waitcnt vmcnt(20)
	v_mul_f64 v[90:91], v[0:1], v[6:7]
	v_mul_f64 v[88:89], v[2:3], v[6:7]
	v_fma_f64 v[90:91], v[2:3], v[4:5], -v[90:91]
	v_fmac_f64_e32 v[88:89], v[0:1], v[4:5]
	s_waitcnt vmcnt(18)
	v_mul_f64 v[2:3], v[12:13], v[10:11]
	v_mul_f64 v[0:1], v[14:15], v[10:11]
	v_fma_f64 v[2:3], v[14:15], v[8:9], -v[2:3]
	v_fmac_f64_e32 v[0:1], v[12:13], v[8:9]
	ds_write_b128 v92, v[88:91]
	ds_write_b128 v93, v[0:3] offset:336
	s_waitcnt vmcnt(14)
	v_mul_f64 v[2:3], v[28:29], v[26:27]
	v_mul_f64 v[0:1], v[30:31], v[26:27]
	v_fma_f64 v[2:3], v[30:31], v[24:25], -v[2:3]
	v_fmac_f64_e32 v[0:1], v[28:29], v[24:25]
	ds_write_b128 v93, v[0:3] offset:1008
	s_waitcnt vmcnt(12)
	v_mul_f64 v[0:1], v[34:35], v[38:39]
	v_mul_f64 v[2:3], v[32:33], v[38:39]
	v_fmac_f64_e32 v[0:1], v[32:33], v[36:37]
	v_fma_f64 v[2:3], v[34:35], v[36:37], -v[2:3]
	ds_write_b128 v93, v[0:3] offset:1344
	s_waitcnt vmcnt(10)
	v_mul_f64 v[0:1], v[46:47], v[42:43]
	v_mul_f64 v[2:3], v[44:45], v[42:43]
	v_fmac_f64_e32 v[0:1], v[44:45], v[40:41]
	v_fma_f64 v[2:3], v[46:47], v[40:41], -v[2:3]
	;; [unrolled: 6-line block ×6, first 2 shown]
	v_mul_f64 v[6:7], v[16:17], v[22:23]
	v_mul_f64 v[4:5], v[18:19], v[22:23]
	ds_write_b128 v93, v[0:3] offset:3024
	s_waitcnt vmcnt(0)
	v_mul_f64 v[0:1], v[86:87], v[82:83]
	v_mul_f64 v[2:3], v[84:85], v[82:83]
	v_fma_f64 v[6:7], v[18:19], v[20:21], -v[6:7]
	v_fmac_f64_e32 v[4:5], v[16:17], v[20:21]
	v_fmac_f64_e32 v[0:1], v[84:85], v[80:81]
	v_fma_f64 v[2:3], v[86:87], v[80:81], -v[2:3]
	ds_write_b128 v93, v[4:7] offset:672
	ds_write_b128 v93, v[0:3] offset:3360
.LBB0_3:
	s_or_b64 exec, exec, s[12:13]
	s_load_dwordx2 s[4:5], s[0:1], 0x20
	s_load_dwordx2 s[10:11], s[0:1], 0x8
	s_waitcnt lgkmcnt(0)
	s_barrier
	s_waitcnt lgkmcnt(0)
                                        ; implicit-def: $vgpr8_vgpr9
                                        ; implicit-def: $vgpr12_vgpr13
                                        ; implicit-def: $vgpr16_vgpr17
                                        ; implicit-def: $vgpr20_vgpr21
                                        ; implicit-def: $vgpr24_vgpr25
                                        ; implicit-def: $vgpr28_vgpr29
                                        ; implicit-def: $vgpr32_vgpr33
                                        ; implicit-def: $vgpr36_vgpr37
                                        ; implicit-def: $vgpr40_vgpr41
                                        ; implicit-def: $vgpr44_vgpr45
                                        ; implicit-def: $vgpr48_vgpr49
	s_and_saveexec_b64 s[0:1], vcc
	s_cbranch_execz .LBB0_5
; %bb.4:
	v_lshlrev_b32_e32 v0, 4, v202
	v_lshl_add_u32 v0, v192, 4, v0
	ds_read_b128 v[8:11], v0
	ds_read_b128 v[12:15], v0 offset:336
	ds_read_b128 v[16:19], v0 offset:672
	;; [unrolled: 1-line block ×10, first 2 shown]
.LBB0_5:
	s_or_b64 exec, exec, s[0:1]
	s_mov_b32 s16, 0xf8bb580b
	s_waitcnt lgkmcnt(0)
	v_add_f64 v[68:69], v[14:15], -v[50:51]
	s_mov_b32 s0, 0x8764f0ba
	s_mov_b32 s17, 0xbfe14ced
	;; [unrolled: 1-line block ×3, first 2 shown]
	v_add_f64 v[60:61], v[12:13], v[48:49]
	v_add_f64 v[62:63], v[12:13], -v[48:49]
	s_mov_b32 s1, 0x3feaeb8c
	v_mul_f64 v[52:53], v[68:69], s[16:17]
	s_mov_b32 s6, 0xd9c712b6
	s_mov_b32 s19, 0xbfed1bb4
	v_add_f64 v[94:95], v[18:19], -v[46:47]
	v_add_f64 v[76:77], v[14:15], v[50:51]
	v_mul_f64 v[54:55], v[62:63], s[16:17]
	v_fma_f64 v[0:1], s[0:1], v[60:61], v[52:53]
	s_mov_b32 s7, 0x3fda9628
	s_mov_b32 s14, 0x43842ef
	v_add_f64 v[78:79], v[16:17], v[44:45]
	v_add_f64 v[86:87], v[16:17], -v[44:45]
	v_mul_f64 v[56:57], v[94:95], s[18:19]
	v_add_f64 v[0:1], v[8:9], v[0:1]
	v_fma_f64 v[2:3], v[76:77], s[0:1], -v[54:55]
	s_mov_b32 s12, 0x640f44db
	s_mov_b32 s15, 0xbfefac9e
	v_add_f64 v[100:101], v[18:19], v[46:47]
	v_mul_f64 v[58:59], v[86:87], s[18:19]
	v_fma_f64 v[4:5], s[6:7], v[78:79], v[56:57]
	v_add_f64 v[124:125], v[22:23], -v[42:43]
	v_add_f64 v[2:3], v[10:11], v[2:3]
	s_mov_b32 s13, 0xbfc2375f
	v_add_f64 v[0:1], v[4:5], v[0:1]
	v_fma_f64 v[4:5], v[100:101], s[6:7], -v[58:59]
	v_add_f64 v[90:91], v[20:21], v[40:41]
	v_mul_f64 v[64:65], v[124:125], s[14:15]
	v_add_f64 v[106:107], v[20:21], -v[40:41]
	s_mov_b32 s24, 0xbb3a28a1
	v_add_f64 v[2:3], v[4:5], v[2:3]
	v_fma_f64 v[4:5], s[12:13], v[90:91], v[64:65]
	v_add_f64 v[138:139], v[22:23], v[42:43]
	v_mul_f64 v[66:67], v[106:107], s[14:15]
	s_mov_b32 s22, 0x7f775887
	s_mov_b32 s25, 0xbfe82f19
	v_add_f64 v[144:145], v[26:27], -v[38:39]
	v_add_f64 v[0:1], v[4:5], v[0:1]
	v_fma_f64 v[4:5], v[138:139], s[12:13], -v[66:67]
	s_mov_b32 s23, 0xbfe4f49e
	v_add_f64 v[116:117], v[24:25], v[36:37]
	v_mul_f64 v[70:71], v[144:145], s[24:25]
	v_add_f64 v[128:129], v[24:25], -v[36:37]
	s_mov_b32 s30, 0xfd768dbf
	v_add_f64 v[2:3], v[4:5], v[2:3]
	v_fma_f64 v[4:5], s[22:23], v[116:117], v[70:71]
	v_add_f64 v[130:131], v[26:27], v[38:39]
	v_mul_f64 v[84:85], v[128:129], s[24:25]
	s_mov_b32 s26, 0x9bcd5057
	s_mov_b32 s31, 0x3fd207e7
	;; [unrolled: 1-line block ×4, first 2 shown]
	v_add_f64 v[162:163], v[30:31], -v[34:35]
	v_add_f64 v[0:1], v[4:5], v[0:1]
	v_fma_f64 v[4:5], v[130:131], s[22:23], -v[84:85]
	s_mov_b32 s27, 0xbfeeb42a
	v_add_f64 v[134:135], v[28:29], v[32:33]
	v_mul_f64 v[88:89], v[162:163], s[28:29]
	v_add_f64 v[158:159], v[28:29], -v[32:33]
	v_add_f64 v[2:3], v[4:5], v[2:3]
	v_fma_f64 v[4:5], s[26:27], v[134:135], v[88:89]
	v_add_f64 v[140:141], v[30:31], v[34:35]
	v_mul_f64 v[92:93], v[158:159], s[28:29]
	v_add_f64 v[0:1], v[4:5], v[0:1]
	v_fma_f64 v[4:5], v[140:141], s[26:27], -v[92:93]
	v_mul_f64 v[96:97], v[68:69], s[18:19]
	v_add_f64 v[2:3], v[4:5], v[2:3]
	v_fma_f64 v[4:5], s[6:7], v[60:61], v[96:97]
	v_mul_f64 v[98:99], v[94:95], s[24:25]
	v_add_f64 v[4:5], v[8:9], v[4:5]
	v_fma_f64 v[6:7], s[22:23], v[78:79], v[98:99]
	v_mul_f64 v[104:105], v[62:63], s[18:19]
	v_add_f64 v[4:5], v[6:7], v[4:5]
	v_fma_f64 v[6:7], v[76:77], s[6:7], -v[104:105]
	v_mul_f64 v[112:113], v[86:87], s[24:25]
	v_add_f64 v[6:7], v[10:11], v[6:7]
	v_fma_f64 v[72:73], v[100:101], s[22:23], -v[112:113]
	v_mul_f64 v[102:103], v[124:125], s[30:31]
	v_add_f64 v[6:7], v[72:73], v[6:7]
	v_fma_f64 v[72:73], s[26:27], v[90:91], v[102:103]
	v_mul_f64 v[118:119], v[106:107], s[30:31]
	s_mov_b32 s39, 0x3fefac9e
	s_mov_b32 s38, s14
	v_add_f64 v[4:5], v[72:73], v[4:5]
	v_fma_f64 v[72:73], v[138:139], s[26:27], -v[118:119]
	v_mul_f64 v[114:115], v[144:145], s[38:39]
	v_add_f64 v[6:7], v[72:73], v[6:7]
	v_fma_f64 v[72:73], s[12:13], v[116:117], v[114:115]
	v_mul_f64 v[122:123], v[128:129], s[38:39]
	s_mov_b32 s35, 0x3fe14ced
	s_mov_b32 s34, s16
	v_add_f64 v[4:5], v[72:73], v[4:5]
	v_fma_f64 v[72:73], v[130:131], s[12:13], -v[122:123]
	v_mul_f64 v[120:121], v[162:163], s[34:35]
	v_add_f64 v[6:7], v[72:73], v[6:7]
	v_fma_f64 v[72:73], s[0:1], v[134:135], v[120:121]
	v_mul_f64 v[126:127], v[158:159], s[34:35]
	v_add_f64 v[4:5], v[72:73], v[4:5]
	v_fma_f64 v[72:73], v[140:141], s[0:1], -v[126:127]
	v_mul_f64 v[132:133], v[68:69], s[14:15]
	v_add_f64 v[6:7], v[72:73], v[6:7]
	v_fma_f64 v[72:73], s[12:13], v[60:61], v[132:133]
	v_mul_f64 v[136:137], v[94:95], s[30:31]
	v_add_f64 v[72:73], v[8:9], v[72:73]
	v_fma_f64 v[74:75], s[26:27], v[78:79], v[136:137]
	v_mul_f64 v[146:147], v[62:63], s[14:15]
	v_add_f64 v[72:73], v[74:75], v[72:73]
	v_fma_f64 v[74:75], v[76:77], s[12:13], -v[146:147]
	v_mul_f64 v[148:149], v[86:87], s[30:31]
	s_mov_b32 s37, 0x3fed1bb4
	s_mov_b32 s36, s18
	v_add_f64 v[74:75], v[10:11], v[74:75]
	v_fma_f64 v[80:81], v[100:101], s[26:27], -v[148:149]
	v_mul_f64 v[142:143], v[124:125], s[36:37]
	v_add_f64 v[74:75], v[80:81], v[74:75]
	v_fma_f64 v[80:81], s[6:7], v[90:91], v[142:143]
	v_mul_f64 v[154:155], v[106:107], s[36:37]
	v_add_f64 v[72:73], v[80:81], v[72:73]
	v_fma_f64 v[80:81], v[138:139], s[6:7], -v[154:155]
	v_mul_f64 v[150:151], v[144:145], s[16:17]
	v_add_f64 v[74:75], v[80:81], v[74:75]
	v_fma_f64 v[80:81], s[0:1], v[116:117], v[150:151]
	v_mul_f64 v[156:157], v[128:129], s[16:17]
	;; [unrolled: 6-line block ×4, first 2 shown]
	v_add_f64 v[80:81], v[8:9], v[80:81]
	v_fma_f64 v[82:83], s[12:13], v[78:79], v[166:167]
	v_mul_f64 v[170:171], v[62:63], s[24:25]
	v_add_f64 v[80:81], v[82:83], v[80:81]
	v_fma_f64 v[82:83], v[76:77], s[22:23], -v[170:171]
	v_mul_f64 v[174:175], v[86:87], s[38:39]
	v_add_f64 v[82:83], v[10:11], v[82:83]
	v_fma_f64 v[168:169], v[100:101], s[12:13], -v[174:175]
	v_add_f64 v[82:83], v[168:169], v[82:83]
	v_mul_f64 v[168:169], v[124:125], s[16:17]
	v_fma_f64 v[172:173], s[0:1], v[90:91], v[168:169]
	v_mul_f64 v[178:179], v[106:107], s[16:17]
	v_add_f64 v[80:81], v[172:173], v[80:81]
	v_fma_f64 v[172:173], v[138:139], s[0:1], -v[178:179]
	v_add_f64 v[82:83], v[172:173], v[82:83]
	v_mul_f64 v[172:173], v[144:145], s[28:29]
	v_fma_f64 v[176:177], s[26:27], v[116:117], v[172:173]
	;; [unrolled: 6-line block ×3, first 2 shown]
	v_add_f64 v[80:81], v[182:183], v[80:81]
	v_mul_f64 v[182:183], v[158:159], s[36:37]
	v_fma_f64 v[184:185], v[140:141], s[6:7], -v[182:183]
	v_add_f64 v[82:83], v[184:185], v[82:83]
	s_barrier
	s_and_saveexec_b64 s[20:21], vcc
	s_cbranch_execz .LBB0_7
; %bb.6:
	v_accvgpr_write_b32 a0, v192
	v_accvgpr_write_b32 a1, v193
	v_mul_f64 v[192:193], v[76:77], s[0:1]
	v_mul_f64 v[196:197], v[76:77], s[6:7]
	;; [unrolled: 1-line block ×11, first 2 shown]
	v_fma_f64 v[252:253], s[30:31], v[62:63], v[76:77]
	v_mul_f64 v[224:225], v[138:139], s[12:13]
	v_mul_f64 v[228:229], v[138:139], s[26:27]
	;; [unrolled: 1-line block ×4, first 2 shown]
	v_fma_f64 v[186:187], s[18:19], v[128:129], v[248:249]
	v_mul_f64 v[138:139], v[138:139], s[22:23]
	s_mov_b32 s19, 0x3fe82f19
	s_mov_b32 s18, s24
	v_fma_f64 v[250:251], s[16:17], v[86:87], v[100:101]
	v_add_f64 v[252:253], v[10:11], v[252:253]
	v_add_f64 v[250:251], v[250:251], v[252:253]
	v_fma_f64 v[252:253], s[18:19], v[106:107], v[138:139]
	v_mul_f64 v[246:247], v[140:141], s[12:13]
	v_add_f64 v[250:251], v[252:253], v[250:251]
	v_mul_f64 v[68:69], v[68:69], s[28:29]
	v_fma_f64 v[184:185], s[38:39], v[158:159], v[246:247]
	v_add_f64 v[186:187], v[186:187], v[250:251]
	v_mul_f64 v[94:95], v[94:95], s[34:35]
	v_fma_f64 v[250:251], s[26:27], v[60:61], v[68:69]
	;; [unrolled: 3-line block ×3, first 2 shown]
	v_add_f64 v[250:251], v[8:9], v[250:251]
	v_mul_f64 v[190:191], v[60:61], s[0:1]
	v_mul_f64 v[194:195], v[60:61], s[6:7]
	;; [unrolled: 1-line block ×3, first 2 shown]
	v_mov_b64_e32 v[108:109], v[202:203]
	v_mul_f64 v[202:203], v[60:61], s[22:23]
	v_mul_f64 v[144:145], v[144:145], s[36:37]
	v_add_f64 v[184:185], v[184:185], v[250:251]
	v_fma_f64 v[250:251], s[22:23], v[90:91], v[124:125]
	v_fma_f64 v[60:61], v[60:61], s[26:27], -v[68:69]
	v_mul_f64 v[206:207], v[78:79], s[6:7]
	v_mul_f64 v[210:211], v[78:79], s[22:23]
	;; [unrolled: 1-line block ×5, first 2 shown]
	v_add_f64 v[184:185], v[250:251], v[184:185]
	v_fma_f64 v[250:251], s[6:7], v[116:117], v[144:145]
	v_fma_f64 v[78:79], v[78:79], s[0:1], -v[94:95]
	v_add_f64 v[60:61], v[8:9], v[60:61]
	v_mul_f64 v[222:223], v[90:91], s[12:13]
	v_mul_f64 v[226:227], v[90:91], s[26:27]
	;; [unrolled: 1-line block ×4, first 2 shown]
	v_add_f64 v[184:185], v[250:251], v[184:185]
	v_fma_f64 v[250:251], s[12:13], v[134:135], v[162:163]
	v_fma_f64 v[90:91], v[90:91], s[22:23], -v[124:125]
	v_add_f64 v[60:61], v[78:79], v[60:61]
	v_mul_f64 v[238:239], v[116:117], s[22:23]
	v_mul_f64 v[242:243], v[116:117], s[12:13]
	v_add_f64 v[184:185], v[250:251], v[184:185]
	v_mul_f64 v[250:251], v[116:117], s[0:1]
	v_fmac_f64_e32 v[246:247], s[14:15], v[158:159]
	v_mul_f64 v[158:159], v[116:117], s[26:27]
	v_fma_f64 v[116:117], v[116:117], s[6:7], -v[144:145]
	v_add_f64 v[60:61], v[90:91], v[60:61]
	v_fmac_f64_e32 v[76:77], s[28:29], v[62:63]
	v_add_f64 v[60:61], v[116:117], v[60:61]
	v_add_f64 v[116:117], v[170:171], v[204:205]
	v_fmac_f64_e32 v[100:101], s[34:35], v[86:87]
	v_add_f64 v[62:63], v[10:11], v[76:77]
	v_add_f64 v[94:95], v[174:175], v[220:221]
	;; [unrolled: 1-line block ×3, first 2 shown]
	v_mul_f64 v[240:241], v[130:131], s[22:23]
	v_mul_f64 v[244:245], v[130:131], s[12:13]
	;; [unrolled: 1-line block ×4, first 2 shown]
	v_fmac_f64_e32 v[138:139], s[24:25], v[106:107]
	v_add_f64 v[62:63], v[100:101], v[62:63]
	v_add_f64 v[90:91], v[178:179], v[236:237]
	;; [unrolled: 1-line block ×3, first 2 shown]
	v_add_f64 v[116:117], v[202:203], -v[164:165]
	v_add_f64 v[62:63], v[138:139], v[62:63]
	v_mul_f64 v[138:139], v[140:141], s[6:7]
	v_add_f64 v[78:79], v[180:181], v[130:131]
	v_add_f64 v[90:91], v[90:91], v[94:95]
	v_add_f64 v[94:95], v[218:219], -v[166:167]
	v_add_f64 v[116:117], v[8:9], v[116:117]
	v_add_f64 v[124:125], v[146:147], v[200:201]
	v_mul_f64 v[76:77], v[134:135], s[6:7]
	v_add_f64 v[68:69], v[182:183], v[138:139]
	v_add_f64 v[78:79], v[78:79], v[90:91]
	v_add_f64 v[90:91], v[234:235], -v[168:169]
	v_add_f64 v[94:95], v[94:95], v[116:117]
	v_add_f64 v[116:117], v[148:149], v[216:217]
	;; [unrolled: 1-line block ×4, first 2 shown]
	v_add_f64 v[68:69], v[76:77], -v[176:177]
	v_add_f64 v[76:77], v[158:159], -v[172:173]
	v_add_f64 v[90:91], v[90:91], v[94:95]
	v_add_f64 v[94:95], v[154:155], v[232:233]
	;; [unrolled: 1-line block ×3, first 2 shown]
	v_fmac_f64_e32 v[248:249], s[36:37], v[128:129]
	v_mul_f64 v[128:129], v[140:141], s[22:23]
	v_add_f64 v[76:77], v[76:77], v[90:91]
	v_add_f64 v[90:91], v[156:157], v[252:253]
	;; [unrolled: 1-line block ×3, first 2 shown]
	v_mul_f64 v[100:101], v[134:135], s[22:23]
	v_add_f64 v[76:77], v[68:69], v[76:77]
	v_add_f64 v[68:69], v[160:161], v[128:129]
	;; [unrolled: 1-line block ×3, first 2 shown]
	v_add_f64 v[116:117], v[198:199], -v[132:133]
	v_add_f64 v[104:105], v[104:105], v[196:197]
	v_add_f64 v[96:97], v[194:195], -v[96:97]
	v_add_f64 v[54:55], v[54:55], v[192:193]
	;; [unrolled: 2-line block ×3, first 2 shown]
	v_add_f64 v[68:69], v[100:101], -v[152:153]
	v_add_f64 v[100:101], v[214:215], -v[136:137]
	v_add_f64 v[116:117], v[8:9], v[116:117]
	v_add_f64 v[104:105], v[10:11], v[104:105]
	;; [unrolled: 1-line block ×7, first 2 shown]
	v_add_f64 v[94:95], v[230:231], -v[142:143]
	v_add_f64 v[100:101], v[100:101], v[116:117]
	v_add_f64 v[10:11], v[10:11], v[18:19]
	;; [unrolled: 1-line block ×3, first 2 shown]
	v_add_f64 v[90:91], v[250:251], -v[150:151]
	v_add_f64 v[94:95], v[94:95], v[100:101]
	v_add_f64 v[100:101], v[112:113], v[212:213]
	;; [unrolled: 1-line block ×9, first 2 shown]
	v_mul_f64 v[188:189], v[140:141], s[0:1]
	v_add_f64 v[128:129], v[68:69], v[90:91]
	v_add_f64 v[90:91], v[122:123], v[244:245]
	v_add_f64 v[94:95], v[94:95], v[100:101]
	v_add_f64 v[10:11], v[10:11], v[30:31]
	v_add_f64 v[8:9], v[8:9], v[28:29]
	v_add_f64 v[68:69], v[126:127], v[188:189]
	v_add_f64 v[90:91], v[90:91], v[94:95]
	v_add_f64 v[94:95], v[210:211], -v[98:99]
	v_add_f64 v[10:11], v[10:11], v[34:35]
	v_add_f64 v[8:9], v[8:9], v[32:33]
	v_mul_f64 v[86:87], v[134:135], s[0:1]
	v_add_f64 v[100:101], v[68:69], v[90:91]
	v_add_f64 v[90:91], v[226:227], -v[102:103]
	v_add_f64 v[94:95], v[94:95], v[96:97]
	v_add_f64 v[58:59], v[58:59], v[208:209]
	v_add_f64 v[56:57], v[206:207], -v[56:57]
	v_add_f64 v[10:11], v[10:11], v[38:39]
	v_add_f64 v[8:9], v[8:9], v[36:37]
	v_mov_b64_e32 v[202:203], v[108:109]
	v_add_f64 v[68:69], v[86:87], -v[120:121]
	v_add_f64 v[86:87], v[242:243], -v[114:115]
	v_add_f64 v[90:91], v[90:91], v[94:95]
	v_add_f64 v[66:67], v[66:67], v[224:225]
	;; [unrolled: 1-line block ×3, first 2 shown]
	v_add_f64 v[64:65], v[222:223], -v[64:65]
	v_add_f64 v[52:53], v[56:57], v[52:53]
	v_add_f64 v[10:11], v[10:11], v[42:43]
	;; [unrolled: 1-line block ×3, first 2 shown]
	v_mul_f64 v[254:255], v[134:135], s[26:27]
	v_mul_f64 v[106:107], v[140:141], s[26:27]
	v_add_f64 v[86:87], v[86:87], v[90:91]
	v_add_f64 v[84:85], v[84:85], v[240:241]
	v_accvgpr_read_b32 v192, a0
	v_add_f64 v[54:55], v[66:67], v[54:55]
	v_add_f64 v[66:67], v[238:239], -v[70:71]
	v_add_f64 v[52:53], v[64:65], v[52:53]
	v_add_f64 v[10:11], v[10:11], v[46:47]
	;; [unrolled: 1-line block ×3, first 2 shown]
	v_mul_lo_u16_e32 v12, 11, v202
	v_add_f64 v[62:63], v[248:249], v[62:63]
	v_fma_f64 v[134:135], v[134:135], s[12:13], -v[162:163]
	v_add_f64 v[98:99], v[68:69], v[86:87]
	v_add_f64 v[68:69], v[92:93], v[106:107]
	v_accvgpr_read_b32 v193, a1
	v_add_f64 v[54:55], v[84:85], v[54:55]
	v_add_f64 v[58:59], v[254:255], -v[88:89]
	v_add_f64 v[52:53], v[66:67], v[52:53]
	v_add_f64 v[10:11], v[10:11], v[50:51]
	;; [unrolled: 1-line block ×3, first 2 shown]
	v_add_lshl_u32 v12, v192, v12, 4
	v_add_f64 v[62:63], v[246:247], v[62:63]
	v_add_f64 v[60:61], v[134:135], v[60:61]
	;; [unrolled: 1-line block ×4, first 2 shown]
	ds_write_b128 v12, v[8:11]
	ds_write_b128 v12, v[52:55] offset:16
	ds_write_b128 v12, v[98:101] offset:32
	ds_write_b128 v12, v[128:131] offset:48
	ds_write_b128 v12, v[76:79] offset:64
	ds_write_b128 v12, v[60:63] offset:80
	ds_write_b128 v12, v[184:187] offset:96
	ds_write_b128 v12, v[80:83] offset:112
	ds_write_b128 v12, v[72:75] offset:128
	ds_write_b128 v12, v[4:7] offset:144
	ds_write_b128 v12, v[0:3] offset:160
.LBB0_7:
	s_or_b64 exec, exec, s[20:21]
	s_movk_i32 s0, 0x75
	v_mul_lo_u16_sdwa v8, v202, s0 dst_sel:DWORD dst_unused:UNUSED_PAD src0_sel:BYTE_0 src1_sel:DWORD
	v_sub_u16_sdwa v9, v202, v8 dst_sel:DWORD dst_unused:UNUSED_PAD src0_sel:DWORD src1_sel:BYTE_1
	v_lshrrev_b16_e32 v9, 1, v9
	v_and_b32_e32 v9, 0x7f, v9
	v_add_u16_sdwa v8, v9, v8 dst_sel:DWORD dst_unused:UNUSED_PAD src0_sel:DWORD src1_sel:BYTE_1
	v_lshrrev_b16_e32 v92, 3, v8
	v_mul_lo_u16_e32 v8, 11, v92
	v_sub_u16_e32 v93, v202, v8
	v_mov_b32_e32 v8, 6
	v_mul_u32_u24_sdwa v8, v93, v8 dst_sel:DWORD dst_unused:UNUSED_PAD src0_sel:BYTE_0 src1_sel:DWORD
	v_lshlrev_b32_e32 v32, 4, v8
	s_load_dwordx4 s[4:7], s[4:5], 0x0
	s_waitcnt lgkmcnt(0)
	s_barrier
	global_load_dwordx4 v[20:23], v32, s[10:11]
	global_load_dwordx4 v[16:19], v32, s[10:11] offset:16
	global_load_dwordx4 v[12:15], v32, s[10:11] offset:32
	;; [unrolled: 1-line block ×5, first 2 shown]
	v_add_lshl_u32 v190, v192, v202, 4
	ds_read_b128 v[32:35], v190
	ds_read_b128 v[36:39], v190 offset:528
	ds_read_b128 v[40:43], v190 offset:1056
	;; [unrolled: 1-line block ×6, first 2 shown]
	s_mov_b32 s12, 0x37e14327
	s_mov_b32 s14, 0xaaaaaaaa
	;; [unrolled: 1-line block ×6, first 2 shown]
	s_waitcnt lgkmcnt(0)
	s_barrier
	s_waitcnt vmcnt(5)
	v_mul_f64 v[60:61], v[38:39], v[22:23]
	v_mul_f64 v[62:63], v[36:37], v[22:23]
	s_waitcnt vmcnt(4)
	v_mul_f64 v[64:65], v[42:43], v[18:19]
	s_waitcnt vmcnt(3)
	v_mul_f64 v[68:69], v[46:47], v[14:15]
	v_mul_f64 v[70:71], v[44:45], v[14:15]
	s_waitcnt vmcnt(1)
	v_mul_f64 v[84:85], v[54:55], v[30:31]
	s_waitcnt vmcnt(0)
	v_mul_f64 v[88:89], v[58:59], v[26:27]
	v_mul_f64 v[66:67], v[40:41], v[18:19]
	;; [unrolled: 1-line block ×5, first 2 shown]
	v_fma_f64 v[36:37], v[36:37], v[20:21], -v[60:61]
	v_fmac_f64_e32 v[62:63], v[38:39], v[20:21]
	v_fma_f64 v[38:39], v[40:41], v[16:17], -v[64:65]
	v_fma_f64 v[40:41], v[44:45], v[12:13], -v[68:69]
	v_fmac_f64_e32 v[70:71], v[46:47], v[12:13]
	v_fma_f64 v[44:45], v[52:53], v[28:29], -v[84:85]
	v_fma_f64 v[46:47], v[56:57], v[24:25], -v[88:89]
	v_mul_f64 v[78:79], v[48:49], v[10:11]
	v_fmac_f64_e32 v[66:67], v[42:43], v[16:17]
	v_fma_f64 v[42:43], v[48:49], v[8:9], -v[76:77]
	v_fmac_f64_e32 v[86:87], v[54:55], v[28:29]
	v_fmac_f64_e32 v[90:91], v[58:59], v[24:25]
	v_add_f64 v[48:49], v[36:37], v[46:47]
	v_add_f64 v[52:53], v[38:39], v[44:45]
	v_fmac_f64_e32 v[78:79], v[50:51], v[8:9]
	v_add_f64 v[50:51], v[62:63], v[90:91]
	v_add_f64 v[54:55], v[66:67], v[86:87]
	;; [unrolled: 1-line block ×4, first 2 shown]
	v_add_f64 v[36:37], v[36:37], -v[46:47]
	v_add_f64 v[46:47], v[62:63], -v[90:91]
	v_add_f64 v[58:59], v[70:71], v[78:79]
	v_add_f64 v[62:63], v[54:55], v[50:51]
	v_add_f64 v[64:65], v[52:53], -v[48:49]
	v_add_f64 v[48:49], v[48:49], -v[56:57]
	;; [unrolled: 1-line block ×3, first 2 shown]
	v_add_f64 v[56:57], v[56:57], v[60:61]
	v_add_f64 v[38:39], v[38:39], -v[44:45]
	v_add_f64 v[44:45], v[66:67], -v[86:87]
	;; [unrolled: 1-line block ×5, first 2 shown]
	v_add_f64 v[58:59], v[58:59], v[62:63]
	v_add_f64 v[32:33], v[32:33], v[56:57]
	;; [unrolled: 1-line block ×3, first 2 shown]
	v_mov_b64_e32 v[84:85], v[32:33]
	v_add_f64 v[40:41], v[42:43], -v[40:41]
	v_add_f64 v[42:43], v[78:79], -v[70:71]
	v_mul_f64 v[48:49], v[48:49], s[12:13]
	v_mul_f64 v[50:51], v[50:51], s[12:13]
	s_mov_b32 s12, 0xe976ee23
	v_fmac_f64_e32 v[84:85], s[14:15], v[56:57]
	v_mov_b64_e32 v[56:57], v[34:35]
	v_add_f64 v[68:69], v[40:41], v[38:39]
	v_add_f64 v[70:71], v[42:43], v[44:45]
	v_add_f64 v[76:77], v[40:41], -v[38:39]
	v_add_f64 v[78:79], v[42:43], -v[44:45]
	v_mul_f64 v[60:61], v[52:53], s[0:1]
	v_mul_f64 v[62:63], v[54:55], s[0:1]
	s_mov_b32 s13, 0xbfe11646
	v_fmac_f64_e32 v[56:57], s[14:15], v[58:59]
	s_mov_b32 s15, 0x3fe77f67
	s_mov_b32 s14, 0x5476071b
	v_add_f64 v[40:41], v[36:37], -v[40:41]
	v_add_f64 v[42:43], v[46:47], -v[42:43]
	;; [unrolled: 1-line block ×4, first 2 shown]
	v_add_f64 v[36:37], v[68:69], v[36:37]
	v_add_f64 v[46:47], v[70:71], v[46:47]
	v_mul_f64 v[68:69], v[76:77], s[12:13]
	v_mul_f64 v[70:71], v[78:79], s[12:13]
	s_mov_b32 s12, 0x429ad128
	v_fma_f64 v[58:59], v[64:65], s[14:15], -v[60:61]
	v_fma_f64 v[60:61], v[66:67], s[14:15], -v[62:63]
	s_mov_b32 s15, 0xbfe77f67
	s_mov_b32 s13, 0x3febfeb5
	v_fma_f64 v[52:53], s[0:1], v[52:53], v[48:49]
	v_fma_f64 v[62:63], v[66:67], s[14:15], -v[50:51]
	v_fmac_f64_e32 v[50:51], s[0:1], v[54:55]
	s_mov_b32 s1, 0x3fd5d0dc
	s_mov_b32 s0, 0xb247c609
	v_mul_f64 v[76:77], v[38:39], s[12:13]
	v_mul_f64 v[78:79], v[44:45], s[12:13]
	v_fma_f64 v[48:49], v[64:65], s[14:15], -v[48:49]
	v_fma_f64 v[64:65], s[0:1], v[40:41], v[68:69]
	v_fma_f64 v[66:67], v[44:45], s[12:13], -v[70:71]
	v_fmac_f64_e32 v[70:71], s[0:1], v[42:43]
	s_mov_b32 s1, 0xbfd5d0dc
	v_fma_f64 v[54:55], v[38:39], s[12:13], -v[68:69]
	v_fma_f64 v[68:69], v[40:41], s[0:1], -v[76:77]
	;; [unrolled: 1-line block ×3, first 2 shown]
	s_mov_b32 s0, 0x37c3f68c
	s_mov_b32 s1, 0x3fdc38aa
	v_add_f64 v[78:79], v[52:53], v[84:85]
	v_add_f64 v[86:87], v[50:51], v[56:57]
	;; [unrolled: 1-line block ×5, first 2 shown]
	v_fmac_f64_e32 v[54:55], s[0:1], v[36:37]
	v_fmac_f64_e32 v[66:67], s[0:1], v[46:47]
	v_fmac_f64_e32 v[68:69], s[0:1], v[36:37]
	v_add_f64 v[58:59], v[48:49], v[84:85]
	v_fmac_f64_e32 v[70:71], s[0:1], v[46:47]
	v_fmac_f64_e32 v[76:77], s[0:1], v[46:47]
	v_add_f64 v[42:43], v[56:57], -v[68:69]
	v_add_f64 v[44:45], v[50:51], -v[66:67]
	v_add_f64 v[46:47], v[54:55], v[52:53]
	v_add_f64 v[48:49], v[66:67], v[50:51]
	v_add_f64 v[50:51], v[52:53], -v[54:55]
	v_add_f64 v[54:55], v[68:69], v[56:57]
	v_mul_u32_u24_e32 v56, 0x4d, v92
	v_add_u32_sdwa v56, v56, v93 dst_sel:DWORD dst_unused:UNUSED_PAD src0_sel:DWORD src1_sel:BYTE_0
	v_fmac_f64_e32 v[64:65], s[0:1], v[36:37]
	v_add_lshl_u32 v191, v192, v56, 4
	v_add_f64 v[36:37], v[70:71], v[78:79]
	v_add_f64 v[38:39], v[86:87], -v[64:65]
	v_add_f64 v[40:41], v[76:77], v[58:59]
	v_add_f64 v[52:53], v[58:59], -v[76:77]
	v_add_f64 v[60:61], v[78:79], -v[70:71]
	v_add_f64 v[62:63], v[64:65], v[86:87]
	ds_write_b128 v191, v[32:35]
	ds_write_b128 v191, v[36:39] offset:176
	ds_write_b128 v191, v[40:43] offset:352
	ds_write_b128 v191, v[44:47] offset:528
	ds_write_b128 v191, v[48:51] offset:704
	ds_write_b128 v191, v[52:55] offset:880
	ds_write_b128 v191, v[60:63] offset:1056
	s_waitcnt lgkmcnt(0)
	s_barrier
	ds_read_b128 v[56:59], v190
	ds_read_b128 v[64:67], v190 offset:528
	ds_read_b128 v[84:87], v190 offset:1232
	;; [unrolled: 1-line block ×5, first 2 shown]
	v_cmp_gt_u16_e64 s[0:1], 11, v202
	s_and_saveexec_b64 s[12:13], s[0:1]
	s_cbranch_execz .LBB0_9
; %bb.8:
	ds_read_b128 v[60:63], v190 offset:1056
	ds_read_b128 v[80:83], v190 offset:2288
	;; [unrolled: 1-line block ×3, first 2 shown]
.LBB0_9:
	s_or_b64 exec, exec, s[12:13]
	v_lshlrev_b32_e32 v32, 5, v202
	global_load_dwordx4 v[44:47], v32, s[10:11] offset:1056
	global_load_dwordx4 v[40:43], v32, s[10:11] offset:1072
	v_add_u32_e32 v32, 0x420, v32
	s_mov_b64 s[12:13], 0x42
	global_load_dwordx4 v[52:55], v32, s[10:11] offset:1056
	global_load_dwordx4 v[48:51], v32, s[10:11] offset:1072
	v_lshl_add_u64 v[32:33], v[202:203], 0, -11
	v_lshl_add_u64 v[34:35], v[202:203], 0, s[12:13]
	v_cndmask_b32_e64 v33, v33, v35, s[0:1]
	v_cndmask_b32_e64 v32, v32, v34, s[0:1]
	v_lshlrev_b64 v[32:33], 5, v[32:33]
	v_lshl_add_u64 v[92:93], s[10:11], 0, v[32:33]
	global_load_dwordx4 v[36:39], v[92:93], off offset:1056
	global_load_dwordx4 v[32:35], v[92:93], off offset:1072
	s_mov_b32 s10, 0xe8584caa
	s_mov_b32 s11, 0x3febb67a
	;; [unrolled: 1-line block ×4, first 2 shown]
	v_lshl_add_u32 v109, v202, 4, v193
	v_add_u32_e32 v108, v111, v193
	s_waitcnt vmcnt(5) lgkmcnt(3)
	v_mul_f64 v[92:93], v[86:87], v[46:47]
	v_mul_f64 v[94:95], v[84:85], v[46:47]
	s_waitcnt vmcnt(4) lgkmcnt(1)
	v_mul_f64 v[96:97], v[90:91], v[42:43]
	v_mul_f64 v[98:99], v[88:89], v[42:43]
	v_fma_f64 v[84:85], v[84:85], v[44:45], -v[92:93]
	v_fmac_f64_e32 v[94:95], v[86:87], v[44:45]
	v_fma_f64 v[86:87], v[88:89], v[40:41], -v[96:97]
	v_fmac_f64_e32 v[98:99], v[90:91], v[40:41]
	s_waitcnt vmcnt(3)
	v_mul_f64 v[88:89], v[70:71], v[54:55]
	v_mul_f64 v[90:91], v[68:69], v[54:55]
	s_waitcnt vmcnt(2) lgkmcnt(0)
	v_mul_f64 v[92:93], v[78:79], v[50:51]
	v_mul_f64 v[96:97], v[76:77], v[50:51]
	v_fma_f64 v[88:89], v[68:69], v[52:53], -v[88:89]
	v_fmac_f64_e32 v[90:91], v[70:71], v[52:53]
	v_fma_f64 v[92:93], v[76:77], v[48:49], -v[92:93]
	v_fmac_f64_e32 v[96:97], v[78:79], v[48:49]
	v_add_f64 v[68:69], v[56:57], v[84:85]
	v_add_f64 v[70:71], v[84:85], v[86:87]
	v_add_f64 v[78:79], v[94:95], -v[98:99]
	v_add_f64 v[76:77], v[58:59], v[94:95]
	v_add_f64 v[94:95], v[94:95], v[98:99]
	s_waitcnt vmcnt(1)
	v_mul_f64 v[102:103], v[82:83], v[38:39]
	v_mul_f64 v[104:105], v[80:81], v[38:39]
	s_waitcnt vmcnt(0)
	v_mul_f64 v[106:107], v[74:75], v[34:35]
	v_mul_f64 v[112:113], v[72:73], v[34:35]
	v_add_f64 v[84:85], v[84:85], -v[86:87]
	v_add_f64 v[68:69], v[68:69], v[86:87]
	v_fmac_f64_e32 v[56:57], -0.5, v[70:71]
	v_add_f64 v[70:71], v[76:77], v[98:99]
	v_fmac_f64_e32 v[58:59], -0.5, v[94:95]
	v_add_f64 v[86:87], v[64:65], v[88:89]
	v_add_f64 v[94:95], v[88:89], v[92:93]
	v_add_f64 v[98:99], v[90:91], -v[96:97]
	v_add_f64 v[100:101], v[66:67], v[90:91]
	v_add_f64 v[90:91], v[90:91], v[96:97]
	v_fma_f64 v[80:81], v[80:81], v[36:37], -v[102:103]
	v_fmac_f64_e32 v[104:105], v[82:83], v[36:37]
	v_fma_f64 v[82:83], v[72:73], v[32:33], -v[106:107]
	v_fmac_f64_e32 v[112:113], v[74:75], v[32:33]
	v_add_f64 v[88:89], v[88:89], -v[92:93]
	v_fma_f64 v[76:77], s[10:11], v[78:79], v[56:57]
	v_fmac_f64_e32 v[56:57], s[12:13], v[78:79]
	v_fma_f64 v[78:79], s[12:13], v[84:85], v[58:59]
	v_fmac_f64_e32 v[58:59], s[10:11], v[84:85]
	v_add_f64 v[84:85], v[86:87], v[92:93]
	v_fmac_f64_e32 v[64:65], -0.5, v[94:95]
	v_add_f64 v[86:87], v[100:101], v[96:97]
	v_fmac_f64_e32 v[66:67], -0.5, v[90:91]
	v_add_f64 v[90:91], v[80:81], v[82:83]
	v_add_f64 v[96:97], v[104:105], v[112:113]
	v_fma_f64 v[72:73], s[10:11], v[98:99], v[64:65]
	v_fmac_f64_e32 v[64:65], s[12:13], v[98:99]
	v_fma_f64 v[74:75], s[12:13], v[88:89], v[66:67]
	v_fmac_f64_e32 v[66:67], s[10:11], v[88:89]
	v_add_f64 v[88:89], v[60:61], v[80:81]
	v_add_f64 v[92:93], v[104:105], -v[112:113]
	v_add_f64 v[94:95], v[62:63], v[104:105]
	v_add_f64 v[98:99], v[80:81], -v[82:83]
	v_fmac_f64_e32 v[60:61], -0.5, v[90:91]
	v_fmac_f64_e32 v[62:63], -0.5, v[96:97]
	v_add_f64 v[80:81], v[88:89], v[82:83]
	v_add_f64 v[82:83], v[94:95], v[112:113]
	v_fma_f64 v[88:89], s[10:11], v[92:93], v[60:61]
	v_fmac_f64_e32 v[60:61], s[12:13], v[92:93]
	v_fma_f64 v[90:91], s[12:13], v[98:99], v[62:63]
	v_fmac_f64_e32 v[62:63], s[10:11], v[98:99]
	ds_write_b128 v109, v[68:71]
	ds_write_b128 v109, v[76:79] offset:1232
	ds_write_b128 v109, v[56:59] offset:2464
	;; [unrolled: 1-line block ×5, first 2 shown]
	s_and_saveexec_b64 s[10:11], s[0:1]
	s_cbranch_execz .LBB0_11
; %bb.10:
	ds_write_b128 v109, v[80:83] offset:1056
	ds_write_b128 v109, v[88:91] offset:2288
	;; [unrolled: 1-line block ×3, first 2 shown]
.LBB0_11:
	s_or_b64 exec, exec, s[10:11]
	s_waitcnt lgkmcnt(0)
	s_barrier
	s_and_saveexec_b64 s[10:11], vcc
	s_cbranch_execz .LBB0_13
; %bb.12:
	global_load_dwordx4 v[92:95], v111, s[2:3] offset:3696
	s_add_u32 s12, s2, 0xe70
	s_addc_u32 s13, s3, 0
	global_load_dwordx4 v[96:99], v111, s[12:13] offset:336
	global_load_dwordx4 v[100:103], v111, s[12:13] offset:672
	;; [unrolled: 1-line block ×10, first 2 shown]
	ds_read_b128 v[140:143], v109
	ds_read_b128 v[144:147], v109 offset:336
	ds_read_b128 v[148:151], v109 offset:672
	;; [unrolled: 1-line block ×10, first 2 shown]
	s_waitcnt vmcnt(4) lgkmcnt(4)
	v_mul_f64 v[188:189], v[166:167], v[122:123]
	v_mul_f64 v[184:185], v[142:143], v[94:95]
	;; [unrolled: 1-line block ×3, first 2 shown]
	v_fma_f64 v[184:185], v[140:141], v[92:93], -v[184:185]
	v_fmac_f64_e32 v[186:187], v[142:143], v[92:93]
	v_mul_f64 v[92:93], v[146:147], v[98:99]
	v_mul_f64 v[94:95], v[144:145], v[98:99]
	ds_write_b128 v109, v[184:187]
	v_mul_f64 v[140:141], v[150:151], v[102:103]
	v_mul_f64 v[98:99], v[148:149], v[102:103]
	;; [unrolled: 1-line block ×9, first 2 shown]
	s_waitcnt vmcnt(3) lgkmcnt(4)
	v_mul_f64 v[194:195], v[170:171], v[126:127]
	v_mul_f64 v[122:123], v[168:169], v[126:127]
	s_waitcnt vmcnt(2) lgkmcnt(3)
	v_mul_f64 v[196:197], v[174:175], v[130:131]
	v_mul_f64 v[126:127], v[172:173], v[130:131]
	;; [unrolled: 3-line block ×4, first 2 shown]
	v_fma_f64 v[92:93], v[144:145], v[96:97], -v[92:93]
	v_fmac_f64_e32 v[94:95], v[146:147], v[96:97]
	v_fma_f64 v[96:97], v[148:149], v[100:101], -v[140:141]
	v_fmac_f64_e32 v[98:99], v[150:151], v[100:101]
	v_fma_f64 v[100:101], v[152:153], v[104:105], -v[142:143]
	v_fmac_f64_e32 v[102:103], v[154:155], v[104:105]
	v_fma_f64 v[104:105], v[156:157], v[112:113], -v[184:185]
	v_fmac_f64_e32 v[106:107], v[158:159], v[112:113]
	v_fma_f64 v[112:113], v[160:161], v[116:117], -v[186:187]
	v_fmac_f64_e32 v[114:115], v[162:163], v[116:117]
	v_fma_f64 v[116:117], v[164:165], v[120:121], -v[188:189]
	v_fmac_f64_e32 v[118:119], v[166:167], v[120:121]
	v_fma_f64 v[120:121], v[168:169], v[124:125], -v[194:195]
	v_fmac_f64_e32 v[122:123], v[170:171], v[124:125]
	v_fma_f64 v[124:125], v[172:173], v[128:129], -v[196:197]
	v_fmac_f64_e32 v[126:127], v[174:175], v[128:129]
	v_fma_f64 v[128:129], v[176:177], v[132:133], -v[198:199]
	v_fmac_f64_e32 v[130:131], v[178:179], v[132:133]
	v_fma_f64 v[132:133], v[180:181], v[136:137], -v[200:201]
	v_fmac_f64_e32 v[134:135], v[182:183], v[136:137]
	ds_write_b128 v109, v[92:95] offset:336
	ds_write_b128 v109, v[96:99] offset:672
	;; [unrolled: 1-line block ×10, first 2 shown]
.LBB0_13:
	s_or_b64 exec, exec, s[10:11]
	s_waitcnt lgkmcnt(0)
	s_barrier
	s_and_saveexec_b64 s[10:11], vcc
	s_cbranch_execz .LBB0_15
; %bb.14:
	ds_read_b128 v[68:71], v109
	ds_read_b128 v[76:79], v109 offset:336
	ds_read_b128 v[56:59], v109 offset:672
	ds_read_b128 v[84:87], v109 offset:1008
	ds_read_b128 v[72:75], v109 offset:1344
	ds_read_b128 v[64:67], v109 offset:1680
	ds_read_b128 v[80:83], v109 offset:2016
	ds_read_b128 v[88:91], v109 offset:2352
	ds_read_b128 v[60:63], v109 offset:2688
	ds_read_b128 v[4:7], v109 offset:3024
	ds_read_b128 v[0:3], v109 offset:3360
.LBB0_15:
	s_or_b64 exec, exec, s[10:11]
	s_mov_b32 s14, 0x43842ef
	s_waitcnt lgkmcnt(0)
	v_add_f64 v[112:113], v[78:79], -v[2:3]
	s_mov_b32 s10, 0x640f44db
	s_mov_b32 s15, 0xbfefac9e
	v_add_f64 v[104:105], v[76:77], v[0:1]
	v_add_f64 v[106:107], v[78:79], v[2:3]
	s_mov_b32 s11, 0xbfc2375f
	v_mul_f64 v[142:143], v[112:113], s[14:15]
	s_mov_b32 s20, 0xbb3a28a1
	v_add_f64 v[122:123], v[58:59], -v[6:7]
	s_mov_b32 s18, 0x9bcd5057
	v_add_f64 v[116:117], v[76:77], -v[0:1]
	v_mul_f64 v[146:147], v[106:107], s[10:11]
	v_fma_f64 v[92:93], v[104:105], s[10:11], -v[142:143]
	s_mov_b32 s12, 0x7f775887
	s_mov_b32 s21, 0xbfe82f19
	v_add_f64 v[114:115], v[56:57], v[4:5]
	v_add_f64 v[118:119], v[58:59], v[6:7]
	s_mov_b32 s19, 0xbfeeb42a
	v_mul_f64 v[152:153], v[122:123], s[30:31]
	v_add_f64 v[92:93], v[68:69], v[92:93]
	v_fma_f64 v[94:95], s[14:15], v[116:117], v[146:147]
	s_mov_b32 s13, 0xbfe4f49e
	v_mul_f64 v[154:155], v[112:113], s[20:21]
	v_add_f64 v[126:127], v[56:57], -v[4:5]
	v_mul_f64 v[156:157], v[118:119], s[18:19]
	v_fma_f64 v[100:101], v[114:115], s[18:19], -v[152:153]
	s_mov_b32 s37, 0x3fefac9e
	s_mov_b32 s36, s14
	v_add_f64 v[94:95], v[70:71], v[94:95]
	v_mul_f64 v[158:159], v[106:107], s[12:13]
	v_fma_f64 v[96:97], v[104:105], s[12:13], -v[154:155]
	v_add_f64 v[92:93], v[100:101], v[92:93]
	v_fma_f64 v[100:101], s[30:31], v[126:127], v[156:157]
	v_mul_f64 v[162:163], v[122:123], s[36:37]
	v_add_f64 v[96:97], v[68:69], v[96:97]
	v_fma_f64 v[98:99], s[20:21], v[116:117], v[158:159]
	v_add_f64 v[94:95], v[100:101], v[94:95]
	v_mul_f64 v[166:167], v[118:119], s[10:11]
	v_fma_f64 v[100:101], v[114:115], s[10:11], -v[162:163]
	v_add_f64 v[128:129], v[86:87], -v[62:63]
	s_mov_b32 s22, 0xd9c712b6
	s_mov_b32 s27, 0x3fed1bb4
	;; [unrolled: 1-line block ×3, first 2 shown]
	v_add_f64 v[98:99], v[70:71], v[98:99]
	v_add_f64 v[96:97], v[100:101], v[96:97]
	v_fma_f64 v[100:101], s[36:37], v[126:127], v[166:167]
	v_add_f64 v[120:121], v[84:85], v[60:61]
	v_add_f64 v[124:125], v[86:87], v[62:63]
	s_mov_b32 s23, 0x3fda9628
	v_mul_f64 v[160:161], v[128:129], s[26:27]
	s_mov_b32 s28, 0xf8bb580b
	v_add_f64 v[98:99], v[100:101], v[98:99]
	v_add_f64 v[132:133], v[84:85], -v[60:61]
	v_mul_f64 v[164:165], v[124:125], s[22:23]
	v_fma_f64 v[100:101], v[120:121], s[22:23], -v[160:161]
	s_mov_b32 s24, 0x8764f0ba
	s_mov_b32 s29, 0xbfe14ced
	v_add_f64 v[92:93], v[100:101], v[92:93]
	v_fma_f64 v[100:101], s[26:27], v[132:133], v[164:165]
	s_mov_b32 s25, 0x3feaeb8c
	v_mul_f64 v[170:171], v[128:129], s[28:29]
	v_add_f64 v[94:95], v[100:101], v[94:95]
	v_mul_f64 v[176:177], v[124:125], s[24:25]
	v_fma_f64 v[100:101], v[120:121], s[24:25], -v[170:171]
	v_add_f64 v[138:139], v[74:75], -v[90:91]
	v_add_f64 v[96:97], v[100:101], v[96:97]
	v_fma_f64 v[100:101], s[28:29], v[132:133], v[176:177]
	v_add_f64 v[130:131], v[72:73], v[88:89]
	v_add_f64 v[134:135], v[74:75], v[90:91]
	v_mul_f64 v[168:169], v[138:139], s[28:29]
	v_add_f64 v[98:99], v[100:101], v[98:99]
	v_add_f64 v[144:145], v[72:73], -v[88:89]
	v_mul_f64 v[172:173], v[134:135], s[24:25]
	v_fma_f64 v[100:101], v[130:131], s[24:25], -v[168:169]
	s_mov_b32 s35, 0xbfd207e7
	s_mov_b32 s34, s30
	v_add_f64 v[92:93], v[100:101], v[92:93]
	v_fma_f64 v[100:101], s[28:29], v[144:145], v[172:173]
	v_mul_f64 v[178:179], v[138:139], s[34:35]
	v_add_f64 v[94:95], v[100:101], v[94:95]
	v_mul_f64 v[182:183], v[134:135], s[18:19]
	v_fma_f64 v[100:101], v[130:131], s[18:19], -v[178:179]
	v_add_f64 v[148:149], v[66:67], -v[82:83]
	v_add_f64 v[100:101], v[100:101], v[96:97]
	v_fma_f64 v[96:97], s[34:35], v[144:145], v[182:183]
	v_add_f64 v[136:137], v[64:65], v[80:81]
	v_add_f64 v[140:141], v[66:67], v[82:83]
	v_mul_f64 v[174:175], v[148:149], s[20:21]
	v_add_f64 v[102:103], v[96:97], v[98:99]
	v_add_f64 v[150:151], v[64:65], -v[80:81]
	v_mul_f64 v[180:181], v[140:141], s[12:13]
	v_fma_f64 v[96:97], v[136:137], s[12:13], -v[174:175]
	v_add_f64 v[96:97], v[96:97], v[92:93]
	v_fma_f64 v[92:93], s[20:21], v[150:151], v[180:181]
	v_mul_f64 v[184:185], v[148:149], s[26:27]
	v_mul_f64 v[186:187], v[140:141], s[22:23]
	v_add_f64 v[98:99], v[92:93], v[94:95]
	v_fma_f64 v[92:93], v[136:137], s[22:23], -v[184:185]
	v_fma_f64 v[94:95], s[26:27], v[150:151], v[186:187]
	v_add_f64 v[92:93], v[92:93], v[100:101]
	v_add_f64 v[94:95], v[94:95], v[102:103]
	s_barrier
	s_and_saveexec_b64 s[16:17], vcc
	s_cbranch_execz .LBB0_17
; %bb.16:
	s_mov_b32 s39, 0x3fe14ced
	s_mov_b32 s38, s28
	v_mul_f64 v[244:245], v[116:117], s[34:35]
	v_mul_f64 v[240:241], v[126:127], s[38:39]
	v_fma_f64 v[246:247], s[18:19], v[106:107], v[244:245]
	v_accvgpr_write_b32 a2, v192
	v_accvgpr_write_b32 a3, v108
	v_mov_b32_e32 v108, v193
	v_mul_f64 v[192:193], v[112:113], s[34:35]
	v_mul_f64 v[236:237], v[132:133], s[20:21]
	v_fma_f64 v[242:243], s[24:25], v[118:119], v[240:241]
	v_add_f64 v[246:247], v[70:71], v[246:247]
	v_mul_f64 v[252:253], v[122:123], s[38:39]
	v_accvgpr_write_b32 a0, v110
	v_accvgpr_write_b32 a1, v111
	v_fma_f64 v[110:111], v[104:105], s[18:19], -v[192:193]
	v_mul_f64 v[196:197], v[144:145], s[26:27]
	v_fma_f64 v[238:239], s[12:13], v[124:125], v[236:237]
	v_add_f64 v[242:243], v[242:243], v[246:247]
	v_mul_f64 v[248:249], v[128:129], s[20:21]
	v_fma_f64 v[254:255], v[114:115], s[24:25], -v[252:253]
	v_add_f64 v[110:111], v[68:69], v[110:111]
	v_mul_f64 v[194:195], v[150:151], s[14:15]
	v_fma_f64 v[102:103], s[22:23], v[134:135], v[196:197]
	v_add_f64 v[238:239], v[238:239], v[242:243]
	v_mul_f64 v[242:243], v[138:139], s[26:27]
	v_fma_f64 v[250:251], v[120:121], s[12:13], -v[248:249]
	v_add_f64 v[110:111], v[254:255], v[110:111]
	v_fma_f64 v[100:101], s[10:11], v[140:141], v[194:195]
	v_add_f64 v[102:103], v[102:103], v[238:239]
	v_mul_f64 v[238:239], v[148:149], s[14:15]
	v_fma_f64 v[246:247], v[130:131], s[22:23], -v[242:243]
	v_add_f64 v[110:111], v[250:251], v[110:111]
	v_add_f64 v[102:103], v[100:101], v[102:103]
	v_fma_f64 v[100:101], v[136:137], s[10:11], -v[238:239]
	v_add_f64 v[110:111], v[246:247], v[110:111]
	v_add_f64 v[100:101], v[100:101], v[110:111]
	v_fma_f64 v[110:111], v[140:141], s[10:11], -v[194:195]
	v_fma_f64 v[194:195], v[134:135], s[22:23], -v[196:197]
	;; [unrolled: 1-line block ×5, first 2 shown]
	v_add_f64 v[240:241], v[70:71], v[240:241]
	v_add_f64 v[236:237], v[236:237], v[240:241]
	;; [unrolled: 1-line block ×3, first 2 shown]
	v_accvgpr_write_b32 a4, v202
	v_mul_f64 v[202:203], v[116:117], s[20:21]
	v_add_f64 v[194:195], v[194:195], v[196:197]
	v_fmac_f64_e32 v[192:193], s[18:19], v[104:105]
	v_mul_f64 v[210:211], v[126:127], s[36:37]
	v_add_f64 v[196:197], v[110:111], v[194:195]
	v_fmac_f64_e32 v[252:253], s[24:25], v[114:115]
	v_add_f64 v[110:111], v[68:69], v[192:193]
	v_add_f64 v[158:159], v[158:159], -v[202:203]
	v_mul_f64 v[200:201], v[104:105], s[12:13]
	v_mul_f64 v[218:219], v[132:133], s[28:29]
	v_fmac_f64_e32 v[248:249], s[12:13], v[120:121]
	v_add_f64 v[110:111], v[252:253], v[110:111]
	v_add_f64 v[166:167], v[166:167], -v[210:211]
	v_add_f64 v[158:159], v[70:71], v[158:159]
	v_mul_f64 v[208:209], v[114:115], s[10:11]
	v_mul_f64 v[226:227], v[144:145], s[34:35]
	v_fmac_f64_e32 v[242:243], s[22:23], v[130:131]
	v_add_f64 v[110:111], v[248:249], v[110:111]
	v_add_f64 v[176:177], v[176:177], -v[218:219]
	v_add_f64 v[158:159], v[166:167], v[158:159]
	v_add_f64 v[154:155], v[200:201], v[154:155]
	v_mul_f64 v[198:199], v[116:117], s[14:15]
	v_mul_f64 v[216:217], v[120:121], s[24:25]
	;; [unrolled: 1-line block ×3, first 2 shown]
	v_fmac_f64_e32 v[238:239], s[10:11], v[136:137]
	v_add_f64 v[110:111], v[242:243], v[110:111]
	v_add_f64 v[182:183], v[182:183], -v[226:227]
	v_add_f64 v[158:159], v[176:177], v[158:159]
	v_add_f64 v[162:163], v[208:209], v[162:163]
	;; [unrolled: 1-line block ×3, first 2 shown]
	v_mul_f64 v[206:207], v[126:127], s[30:31]
	v_mul_f64 v[224:225], v[130:131], s[18:19]
	v_add_f64 v[194:195], v[238:239], v[110:111]
	v_add_f64 v[110:111], v[186:187], -v[234:235]
	v_add_f64 v[158:159], v[182:183], v[158:159]
	v_add_f64 v[166:167], v[216:217], v[170:171]
	;; [unrolled: 1-line block ×3, first 2 shown]
	v_add_f64 v[146:147], v[146:147], -v[198:199]
	v_mul_f64 v[214:215], v[132:133], s[26:27]
	v_mul_f64 v[232:233], v[136:137], s[22:23]
	v_add_f64 v[186:187], v[110:111], v[158:159]
	v_add_f64 v[158:159], v[224:225], v[178:179]
	;; [unrolled: 1-line block ×3, first 2 shown]
	v_add_f64 v[156:157], v[156:157], -v[206:207]
	v_add_f64 v[146:147], v[70:71], v[146:147]
	v_mul_f64 v[222:223], v[144:145], s[28:29]
	v_add_f64 v[110:111], v[232:233], v[184:185]
	v_add_f64 v[154:155], v[158:159], v[154:155]
	v_add_f64 v[158:159], v[164:165], -v[214:215]
	v_add_f64 v[146:147], v[156:157], v[146:147]
	v_mul_f64 v[230:231], v[150:151], s[20:21]
	v_add_f64 v[184:185], v[110:111], v[154:155]
	v_add_f64 v[154:155], v[172:173], -v[222:223]
	v_add_f64 v[146:147], v[158:159], v[146:147]
	s_mov_b32 s27, 0xbfed1bb4
	v_mul_f64 v[220:221], v[130:131], s[24:25]
	v_add_f64 v[110:111], v[180:181], -v[230:231]
	v_add_f64 v[146:147], v[154:155], v[146:147]
	v_mul_f64 v[166:167], v[116:117], s[26:27]
	v_add_f64 v[154:155], v[110:111], v[146:147]
	v_add_f64 v[146:147], v[220:221], v[168:169]
	v_mul_f64 v[162:163], v[126:127], s[20:21]
	v_fma_f64 v[168:169], s[22:23], v[106:107], v[166:167]
	v_fma_f64 v[166:167], v[106:107], s[22:23], -v[166:167]
	v_fma_f64 v[164:165], s[12:13], v[118:119], v[162:163]
	v_fma_f64 v[162:163], v[118:119], s[12:13], -v[162:163]
	v_add_f64 v[166:167], v[70:71], v[166:167]
	v_mul_f64 v[116:117], v[116:117], s[28:29]
	v_add_f64 v[162:163], v[162:163], v[166:167]
	v_fma_f64 v[166:167], s[24:25], v[106:107], v[116:117]
	v_fma_f64 v[106:107], v[106:107], s[24:25], -v[116:117]
	v_add_f64 v[168:169], v[70:71], v[168:169]
	v_add_f64 v[166:167], v[70:71], v[166:167]
	;; [unrolled: 1-line block ×7, first 2 shown]
	v_mul_f64 v[188:189], v[104:105], s[10:11]
	v_add_f64 v[58:59], v[58:59], v[66:67]
	v_mul_f64 v[204:205], v[114:115], s[18:19]
	v_add_f64 v[142:143], v[188:189], v[142:143]
	v_add_f64 v[58:59], v[58:59], v[82:83]
	v_mul_f64 v[212:213], v[120:121], s[22:23]
	v_add_f64 v[152:153], v[204:205], v[152:153]
	v_add_f64 v[142:143], v[68:69], v[142:143]
	;; [unrolled: 1-line block ×6, first 2 shown]
	v_mul_f64 v[228:229], v[136:137], s[12:13]
	v_add_f64 v[142:143], v[156:157], v[142:143]
	v_mul_f64 v[160:161], v[132:133], s[30:31]
	v_add_f64 v[6:7], v[58:59], v[6:7]
	v_add_f64 v[110:111], v[228:229], v[174:175]
	;; [unrolled: 1-line block ×3, first 2 shown]
	v_mul_f64 v[146:147], v[144:145], s[36:37]
	v_fma_f64 v[158:159], s[18:19], v[124:125], v[160:161]
	v_mul_f64 v[178:179], v[112:113], s[26:27]
	v_fma_f64 v[160:161], v[124:125], s[18:19], -v[160:161]
	v_add_f64 v[2:3], v[6:7], v[2:3]
	v_add_f64 v[6:7], v[68:69], v[76:77]
	;; [unrolled: 1-line block ×3, first 2 shown]
	v_mul_f64 v[110:111], v[150:151], s[38:39]
	v_fma_f64 v[156:157], s[10:11], v[134:135], v[146:147]
	v_add_f64 v[164:165], v[164:165], v[168:169]
	v_mul_f64 v[174:175], v[122:123], s[20:21]
	v_fma_f64 v[180:181], v[104:105], s[22:23], -v[178:179]
	v_fma_f64 v[146:147], v[134:135], s[10:11], -v[146:147]
	v_add_f64 v[160:161], v[160:161], v[162:163]
	v_add_f64 v[6:7], v[6:7], v[56:57]
	v_fma_f64 v[142:143], s[24:25], v[140:141], v[110:111]
	v_add_f64 v[158:159], v[158:159], v[164:165]
	v_mul_f64 v[170:171], v[128:129], s[30:31]
	v_fma_f64 v[176:177], v[114:115], s[12:13], -v[174:175]
	v_add_f64 v[180:181], v[68:69], v[180:181]
	v_fma_f64 v[110:111], v[140:141], s[24:25], -v[110:111]
	v_add_f64 v[146:147], v[146:147], v[160:161]
	v_fmac_f64_e32 v[178:179], s[22:23], v[104:105]
	v_add_f64 v[6:7], v[6:7], v[84:85]
	v_add_f64 v[156:157], v[156:157], v[158:159]
	v_mul_f64 v[164:165], v[138:139], s[36:37]
	v_fma_f64 v[172:173], v[120:121], s[18:19], -v[170:171]
	v_add_f64 v[176:177], v[176:177], v[180:181]
	v_add_f64 v[162:163], v[110:111], v[146:147]
	v_fmac_f64_e32 v[174:175], s[12:13], v[114:115]
	v_add_f64 v[110:111], v[68:69], v[178:179]
	v_add_f64 v[6:7], v[6:7], v[72:73]
	;; [unrolled: 1-line block ×3, first 2 shown]
	v_mul_f64 v[142:143], v[148:149], s[38:39]
	v_fma_f64 v[168:169], v[130:131], s[10:11], -v[164:165]
	v_add_f64 v[172:173], v[172:173], v[176:177]
	v_fmac_f64_e32 v[170:171], s[18:19], v[120:121]
	v_add_f64 v[110:111], v[174:175], v[110:111]
	v_add_f64 v[6:7], v[6:7], v[64:65]
	v_fma_f64 v[156:157], v[136:137], s[24:25], -v[142:143]
	v_add_f64 v[168:169], v[168:169], v[172:173]
	v_fmac_f64_e32 v[164:165], s[10:11], v[130:131]
	v_add_f64 v[110:111], v[170:171], v[110:111]
	v_mul_f64 v[126:127], v[126:127], s[26:27]
	v_mul_f64 v[112:113], v[112:113], s[28:29]
	v_add_f64 v[6:7], v[6:7], v[80:81]
	v_add_f64 v[156:157], v[156:157], v[168:169]
	v_fmac_f64_e32 v[142:143], s[24:25], v[136:137]
	v_add_f64 v[110:111], v[164:165], v[110:111]
	v_mul_f64 v[132:133], v[132:133], s[14:15]
	v_fma_f64 v[164:165], s[22:23], v[118:119], v[126:127]
	v_mul_f64 v[122:123], v[122:123], s[26:27]
	v_fma_f64 v[168:169], v[104:105], s[24:25], -v[112:113]
	v_fma_f64 v[118:119], v[118:119], s[22:23], -v[126:127]
	v_fmac_f64_e32 v[112:113], s[24:25], v[104:105]
	v_add_f64 v[6:7], v[6:7], v[88:89]
	v_add_f64 v[160:161], v[142:143], v[110:111]
	v_mul_f64 v[110:111], v[150:151], s[34:35]
	v_mul_f64 v[146:147], v[144:145], s[20:21]
	v_fma_f64 v[150:151], s[10:11], v[124:125], v[132:133]
	v_add_f64 v[164:165], v[164:165], v[166:167]
	v_mul_f64 v[128:129], v[128:129], s[14:15]
	v_fma_f64 v[166:167], v[114:115], s[22:23], -v[122:123]
	v_add_f64 v[168:169], v[68:69], v[168:169]
	v_fma_f64 v[124:125], v[124:125], s[10:11], -v[132:133]
	v_add_f64 v[106:107], v[118:119], v[106:107]
	v_fmac_f64_e32 v[122:123], s[22:23], v[114:115]
	v_add_f64 v[104:105], v[68:69], v[112:113]
	v_add_f64 v[6:7], v[6:7], v[60:61]
	v_accvgpr_read_b32 v202, a4
	v_fma_f64 v[144:145], s[12:13], v[134:135], v[146:147]
	v_add_f64 v[150:151], v[150:151], v[164:165]
	v_mul_f64 v[138:139], v[138:139], s[20:21]
	v_fma_f64 v[164:165], v[120:121], s[10:11], -v[128:129]
	v_add_f64 v[166:167], v[166:167], v[168:169]
	v_fma_f64 v[134:135], v[134:135], s[12:13], -v[146:147]
	v_add_f64 v[106:107], v[124:125], v[106:107]
	v_fmac_f64_e32 v[128:129], s[10:11], v[120:121]
	v_add_f64 v[104:105], v[122:123], v[104:105]
	v_add_f64 v[4:5], v[6:7], v[4:5]
	v_fma_f64 v[142:143], s[18:19], v[140:141], v[110:111]
	v_add_f64 v[144:145], v[144:145], v[150:151]
	v_mul_f64 v[148:149], v[148:149], s[34:35]
	v_fma_f64 v[150:151], v[130:131], s[12:13], -v[138:139]
	v_add_f64 v[164:165], v[164:165], v[166:167]
	v_fma_f64 v[110:111], v[140:141], s[18:19], -v[110:111]
	v_add_f64 v[106:107], v[134:135], v[106:107]
	v_fmac_f64_e32 v[138:139], s[12:13], v[130:131]
	v_add_f64 v[104:105], v[128:129], v[104:105]
	v_add_f64 v[0:1], v[4:5], v[0:1]
	v_mul_lo_u16_e32 v4, 11, v202
	v_accvgpr_read_b32 v192, a2
	v_add_f64 v[144:145], v[142:143], v[144:145]
	v_fma_f64 v[142:143], v[136:137], s[18:19], -v[148:149]
	v_add_f64 v[150:151], v[150:151], v[164:165]
	v_add_f64 v[106:107], v[110:111], v[106:107]
	v_accvgpr_read_b32 v111, a1
	v_accvgpr_read_b32 v110, a0
	v_fmac_f64_e32 v[148:149], s[18:19], v[136:137]
	v_add_f64 v[104:105], v[138:139], v[104:105]
	v_lshl_add_u32 v4, v4, 4, v108
	v_accvgpr_read_b32 v108, a3
	v_add_f64 v[142:143], v[142:143], v[150:151]
	v_add_f64 v[104:105], v[148:149], v[104:105]
	ds_write_b128 v4, v[0:3]
	ds_write_b128 v4, v[104:107] offset:16
	ds_write_b128 v4, v[160:163] offset:32
	;; [unrolled: 1-line block ×10, first 2 shown]
.LBB0_17:
	s_or_b64 exec, exec, s[16:17]
	s_waitcnt lgkmcnt(0)
	s_barrier
	ds_read_b128 v[0:3], v190
	ds_read_b128 v[4:7], v190 offset:528
	ds_read_b128 v[56:59], v190 offset:1056
	;; [unrolled: 1-line block ×6, first 2 shown]
	s_waitcnt lgkmcnt(5)
	v_mul_f64 v[76:77], v[22:23], v[6:7]
	v_fmac_f64_e32 v[76:77], v[20:21], v[4:5]
	v_mul_f64 v[4:5], v[22:23], v[4:5]
	v_fma_f64 v[4:5], v[20:21], v[6:7], -v[4:5]
	s_waitcnt lgkmcnt(4)
	v_mul_f64 v[6:7], v[18:19], v[58:59]
	v_mul_f64 v[18:19], v[18:19], v[56:57]
	v_fmac_f64_e32 v[6:7], v[16:17], v[56:57]
	v_fma_f64 v[16:17], v[16:17], v[58:59], -v[18:19]
	s_waitcnt lgkmcnt(3)
	v_mul_f64 v[18:19], v[14:15], v[62:63]
	v_mul_f64 v[14:15], v[14:15], v[60:61]
	v_fmac_f64_e32 v[18:19], v[12:13], v[60:61]
	;; [unrolled: 5-line block ×3, first 2 shown]
	v_fma_f64 v[8:9], v[8:9], v[66:67], -v[10:11]
	s_waitcnt lgkmcnt(1)
	v_mul_f64 v[10:11], v[30:31], v[70:71]
	s_waitcnt lgkmcnt(0)
	v_mul_f64 v[22:23], v[26:27], v[74:75]
	v_mul_f64 v[26:27], v[26:27], v[72:73]
	v_fmac_f64_e32 v[10:11], v[28:29], v[68:69]
	v_mul_f64 v[20:21], v[30:31], v[68:69]
	v_fmac_f64_e32 v[22:23], v[24:25], v[72:73]
	v_fma_f64 v[24:25], v[24:25], v[74:75], -v[26:27]
	v_fma_f64 v[20:21], v[28:29], v[70:71], -v[20:21]
	v_add_f64 v[26:27], v[76:77], v[22:23]
	v_add_f64 v[28:29], v[4:5], v[24:25]
	v_add_f64 v[4:5], v[4:5], -v[24:25]
	v_add_f64 v[24:25], v[6:7], v[10:11]
	v_add_f64 v[30:31], v[16:17], v[20:21]
	v_add_f64 v[6:7], v[6:7], -v[10:11]
	v_add_f64 v[10:11], v[16:17], -v[20:21]
	v_add_f64 v[16:17], v[18:19], v[14:15]
	v_add_f64 v[20:21], v[12:13], v[8:9]
	v_add_f64 v[8:9], v[8:9], -v[12:13]
	v_add_f64 v[12:13], v[24:25], v[26:27]
	v_add_f64 v[14:15], v[14:15], -v[18:19]
	v_add_f64 v[18:19], v[30:31], v[28:29]
	v_add_f64 v[62:63], v[8:9], v[10:11]
	v_add_f64 v[12:13], v[16:17], v[12:13]
	s_mov_b32 s10, 0x37e14327
	s_mov_b32 s12, 0xe976ee23
	v_add_f64 v[22:23], v[76:77], -v[22:23]
	v_add_f64 v[56:57], v[24:25], -v[26:27]
	;; [unrolled: 1-line block ×7, first 2 shown]
	v_add_f64 v[60:61], v[14:15], v[6:7]
	v_add_f64 v[66:67], v[8:9], -v[10:11]
	v_add_f64 v[8:9], v[4:5], -v[8:9]
	;; [unrolled: 1-line block ×3, first 2 shown]
	v_add_f64 v[16:17], v[20:21], v[18:19]
	v_add_f64 v[20:21], v[62:63], v[4:5]
	;; [unrolled: 1-line block ×3, first 2 shown]
	s_mov_b32 s11, 0x3fe948f6
	s_mov_b32 s13, 0x3fe11646
	;; [unrolled: 1-line block ×3, first 2 shown]
	v_add_f64 v[64:65], v[14:15], -v[6:7]
	v_add_f64 v[68:69], v[6:7], -v[22:23]
	v_add_f64 v[18:19], v[60:61], v[22:23]
	v_add_f64 v[6:7], v[2:3], v[16:17]
	v_mul_f64 v[0:1], v[26:27], s[10:11]
	v_mul_f64 v[2:3], v[28:29], s[10:11]
	s_mov_b32 s10, 0x36b3c0b5
	v_mul_f64 v[60:61], v[66:67], s[12:13]
	s_mov_b32 s15, 0xbff2aaaa
	v_mov_b64_e32 v[66:67], v[4:5]
	s_mov_b32 s11, 0x3fac98ee
	v_fmac_f64_e32 v[66:67], s[14:15], v[12:13]
	v_mov_b64_e32 v[12:13], v[6:7]
	v_add_f64 v[14:15], v[22:23], -v[14:15]
	v_mul_f64 v[22:23], v[24:25], s[10:11]
	v_mul_f64 v[26:27], v[30:31], s[10:11]
	v_fmac_f64_e32 v[12:13], s[14:15], v[16:17]
	s_mov_b32 s15, 0x3fe77f67
	s_mov_b32 s14, 0x5476071b
	v_mul_f64 v[28:29], v[64:65], s[12:13]
	s_mov_b32 s12, 0x429ad128
	v_fma_f64 v[16:17], s[10:11], v[24:25], v[0:1]
	v_fma_f64 v[22:23], v[56:57], s[14:15], -v[22:23]
	v_fma_f64 v[24:25], v[58:59], s[14:15], -v[26:27]
	s_mov_b32 s15, 0xbfe77f67
	s_mov_b32 s13, 0xbfebfeb5
	v_fma_f64 v[26:27], v[58:59], s[14:15], -v[2:3]
	v_fmac_f64_e32 v[2:3], s[10:11], v[30:31]
	s_mov_b32 s11, 0xbfd5d0dc
	s_mov_b32 s10, 0xb247c609
	v_mul_f64 v[62:63], v[68:69], s[12:13]
	v_mul_f64 v[64:65], v[10:11], s[12:13]
	v_fma_f64 v[0:1], v[56:57], s[14:15], -v[0:1]
	v_fma_f64 v[30:31], s[10:11], v[14:15], v[28:29]
	v_fma_f64 v[56:57], v[10:11], s[12:13], -v[60:61]
	v_fmac_f64_e32 v[60:61], s[10:11], v[8:9]
	s_mov_b32 s11, 0x3fd5d0dc
	v_fma_f64 v[58:59], v[14:15], s[10:11], -v[62:63]
	v_fma_f64 v[62:63], v[8:9], s[10:11], -v[64:65]
	s_mov_b32 s10, 0x37c3f68c
	v_fma_f64 v[28:29], v[68:69], s[12:13], -v[28:29]
	s_mov_b32 s11, 0xbfdc38aa
	v_add_f64 v[64:65], v[16:17], v[66:67]
	v_add_f64 v[2:3], v[2:3], v[12:13]
	;; [unrolled: 1-line block ×6, first 2 shown]
	v_fmac_f64_e32 v[30:31], s[10:11], v[18:19]
	v_fmac_f64_e32 v[60:61], s[10:11], v[20:21]
	;; [unrolled: 1-line block ×6, first 2 shown]
	v_add_f64 v[8:9], v[60:61], v[64:65]
	v_add_f64 v[10:11], v[2:3], -v[30:31]
	v_add_f64 v[12:13], v[62:63], v[0:1]
	v_add_f64 v[14:15], v[26:27], -v[58:59]
	v_add_f64 v[16:17], v[22:23], -v[56:57]
	v_add_f64 v[18:19], v[28:29], v[24:25]
	v_add_f64 v[20:21], v[56:57], v[22:23]
	v_add_f64 v[22:23], v[24:25], -v[28:29]
	v_add_f64 v[24:25], v[0:1], -v[62:63]
	v_add_f64 v[26:27], v[58:59], v[26:27]
	v_add_f64 v[0:1], v[64:65], -v[60:61]
	v_add_f64 v[2:3], v[30:31], v[2:3]
	s_barrier
	ds_write_b128 v191, v[4:7]
	ds_write_b128 v191, v[8:11] offset:176
	ds_write_b128 v191, v[12:15] offset:352
	;; [unrolled: 1-line block ×6, first 2 shown]
	s_waitcnt lgkmcnt(0)
	s_barrier
	ds_read_b128 v[8:11], v190
	ds_read_b128 v[4:7], v190 offset:528
	ds_read_b128 v[24:27], v190 offset:1232
	;; [unrolled: 1-line block ×5, first 2 shown]
	v_add_u32_e32 v28, 0x210, v108
	s_and_saveexec_b64 s[10:11], s[0:1]
	s_cbranch_execz .LBB0_19
; %bb.18:
	ds_read_b128 v[0:3], v190 offset:1056
	ds_read_b128 v[92:95], v190 offset:2288
	;; [unrolled: 1-line block ×3, first 2 shown]
.LBB0_19:
	s_or_b64 exec, exec, s[10:11]
	s_waitcnt lgkmcnt(3)
	v_mul_f64 v[30:31], v[46:47], v[26:27]
	v_fmac_f64_e32 v[30:31], v[44:45], v[24:25]
	v_mul_f64 v[24:25], v[46:47], v[24:25]
	v_fma_f64 v[24:25], v[44:45], v[26:27], -v[24:25]
	s_waitcnt lgkmcnt(1)
	v_mul_f64 v[26:27], v[42:43], v[22:23]
	s_waitcnt lgkmcnt(0)
	v_mul_f64 v[44:45], v[50:51], v[14:15]
	v_fmac_f64_e32 v[26:27], v[40:41], v[20:21]
	v_mul_f64 v[20:21], v[42:43], v[20:21]
	v_fmac_f64_e32 v[44:45], v[48:49], v[12:13]
	v_mul_f64 v[12:13], v[50:51], v[12:13]
	v_fma_f64 v[20:21], v[40:41], v[22:23], -v[20:21]
	v_mul_f64 v[40:41], v[54:55], v[18:19]
	v_fma_f64 v[46:47], v[48:49], v[14:15], -v[12:13]
	v_add_f64 v[14:15], v[30:31], v[26:27]
	s_mov_b32 s10, 0xe8584caa
	v_fmac_f64_e32 v[40:41], v[52:53], v[16:17]
	v_mul_f64 v[16:17], v[54:55], v[16:17]
	v_add_f64 v[12:13], v[8:9], v[30:31]
	v_fmac_f64_e32 v[8:9], -0.5, v[14:15]
	v_add_f64 v[14:15], v[24:25], -v[20:21]
	s_mov_b32 s11, 0xbfebb67a
	s_mov_b32 s13, 0x3febb67a
	;; [unrolled: 1-line block ×3, first 2 shown]
	v_fma_f64 v[42:43], v[52:53], v[18:19], -v[16:17]
	v_fma_f64 v[16:17], s[10:11], v[14:15], v[8:9]
	v_fmac_f64_e32 v[8:9], s[12:13], v[14:15]
	v_add_f64 v[14:15], v[10:11], v[24:25]
	v_add_f64 v[18:19], v[24:25], v[20:21]
	;; [unrolled: 1-line block ×3, first 2 shown]
	v_fmac_f64_e32 v[10:11], -0.5, v[18:19]
	v_add_f64 v[20:21], v[30:31], -v[26:27]
	v_add_f64 v[22:23], v[40:41], v[44:45]
	v_add_f64 v[12:13], v[12:13], v[26:27]
	v_fma_f64 v[18:19], s[12:13], v[20:21], v[10:11]
	v_fmac_f64_e32 v[10:11], s[10:11], v[20:21]
	v_add_f64 v[20:21], v[4:5], v[40:41]
	v_fmac_f64_e32 v[4:5], -0.5, v[22:23]
	v_add_f64 v[22:23], v[42:43], -v[46:47]
	v_add_f64 v[26:27], v[42:43], v[46:47]
	v_fma_f64 v[24:25], s[10:11], v[22:23], v[4:5]
	v_fmac_f64_e32 v[4:5], s[12:13], v[22:23]
	v_add_f64 v[22:23], v[6:7], v[42:43]
	v_fmac_f64_e32 v[6:7], -0.5, v[26:27]
	v_add_f64 v[30:31], v[40:41], -v[44:45]
	v_add_f64 v[20:21], v[20:21], v[44:45]
	v_add_f64 v[22:23], v[22:23], v[46:47]
	v_fma_f64 v[26:27], s[12:13], v[30:31], v[6:7]
	v_fmac_f64_e32 v[6:7], s[10:11], v[30:31]
	ds_write_b128 v109, v[12:15]
	ds_write_b128 v109, v[16:19] offset:1232
	ds_write_b128 v109, v[8:11] offset:2464
	;; [unrolled: 1-line block ×5, first 2 shown]
	v_lshl_add_u32 v16, v192, 4, v111
	s_and_saveexec_b64 s[14:15], s[0:1]
	s_cbranch_execz .LBB0_21
; %bb.20:
	v_mul_f64 v[4:5], v[38:39], v[92:93]
	v_fma_f64 v[6:7], v[36:37], v[94:95], -v[4:5]
	v_mul_f64 v[4:5], v[34:35], v[96:97]
	v_fma_f64 v[10:11], v[32:33], v[98:99], -v[4:5]
	v_mul_f64 v[14:15], v[38:39], v[94:95]
	v_mul_f64 v[18:19], v[34:35], v[98:99]
	v_add_f64 v[4:5], v[6:7], v[10:11]
	v_fmac_f64_e32 v[14:15], v[36:37], v[92:93]
	v_fmac_f64_e32 v[18:19], v[32:33], v[96:97]
	v_fma_f64 v[4:5], -0.5, v[4:5], v[2:3]
	v_add_f64 v[12:13], v[14:15], -v[18:19]
	v_add_f64 v[2:3], v[2:3], v[6:7]
	v_fma_f64 v[8:9], s[10:11], v[12:13], v[4:5]
	v_fmac_f64_e32 v[4:5], s[12:13], v[12:13]
	v_add_f64 v[12:13], v[2:3], v[10:11]
	v_add_f64 v[2:3], v[14:15], v[18:19]
	v_fma_f64 v[2:3], -0.5, v[2:3], v[0:1]
	v_add_f64 v[10:11], v[6:7], -v[10:11]
	v_add_f64 v[0:1], v[0:1], v[14:15]
	v_fma_f64 v[6:7], s[12:13], v[10:11], v[2:3]
	v_fmac_f64_e32 v[2:3], s[10:11], v[10:11]
	v_add_f64 v[10:11], v[0:1], v[18:19]
	ds_write_b128 v16, v[10:13] offset:1056
	ds_write_b128 v16, v[2:5] offset:2288
	;; [unrolled: 1-line block ×3, first 2 shown]
.LBB0_21:
	s_or_b64 exec, exec, s[14:15]
	s_waitcnt lgkmcnt(0)
	s_barrier
	s_and_b64 exec, exec, vcc
	s_cbranch_execz .LBB0_23
; %bb.22:
	global_load_dwordx4 v[0:3], v111, s[2:3]
	global_load_dwordx4 v[4:7], v111, s[2:3] offset:336
	global_load_dwordx4 v[8:11], v111, s[2:3] offset:672
	global_load_dwordx4 v[12:15], v111, s[2:3] offset:1008
	global_load_dwordx4 v[18:21], v111, s[2:3] offset:1344
	global_load_dwordx4 v[22:25], v111, s[2:3] offset:1680
	ds_read_b128 v[26:29], v109
	ds_read_b128 v[30:33], v16 offset:336
	global_load_dwordx4 v[34:37], v111, s[2:3] offset:2016
	ds_read_b128 v[38:41], v16 offset:672
	ds_read_b128 v[42:45], v16 offset:1008
	;; [unrolled: 1-line block ×4, first 2 shown]
	global_load_dwordx4 v[54:57], v111, s[2:3] offset:2352
	global_load_dwordx4 v[58:61], v111, s[2:3] offset:2688
	;; [unrolled: 1-line block ×4, first 2 shown]
	v_mad_u64_u32 v[72:73], s[0:1], s6, v110, 0
	v_mov_b32_e32 v70, s8
	v_mov_b32_e32 v71, s9
	v_mad_u64_u32 v[74:75], s[8:9], s4, v202, 0
	v_mov_b32_e32 v76, v73
	v_mov_b32_e32 v78, v75
	v_mad_u64_u32 v[76:77], s[2:3], s7, v110, v[76:77]
	v_mad_u64_u32 v[78:79], s[2:3], s5, v202, v[78:79]
	v_mov_b32_e32 v73, v76
	v_mov_b32_e32 v75, v78
	v_lshl_add_u64 v[70:71], v[72:73], 4, v[70:71]
	v_mov_b32_e32 v17, 0x150
	v_lshl_add_u64 v[70:71], v[74:75], 4, v[70:71]
	s_mul_i32 s6, s5, 0x150
	v_mad_u64_u32 v[72:73], s[2:3], s4, v17, v[70:71]
	v_add_u32_e32 v73, s6, v73
	v_mad_u64_u32 v[74:75], s[2:3], s4, v17, v[72:73]
	v_add_u32_e32 v75, s6, v75
	s_mov_b32 s0, 0x4046ed29
	v_mad_u64_u32 v[76:77], s[2:3], s4, v17, v[74:75]
	s_mov_b32 s1, 0x3f71bb4a
	v_add_u32_e32 v77, s6, v77
	v_mad_u64_u32 v[78:79], s[2:3], s4, v17, v[76:77]
	v_add_u32_e32 v79, s6, v79
	s_waitcnt vmcnt(10) lgkmcnt(5)
	v_mul_f64 v[80:81], v[28:29], v[2:3]
	v_mul_f64 v[2:3], v[26:27], v[2:3]
	s_waitcnt vmcnt(9) lgkmcnt(4)
	v_mul_f64 v[82:83], v[32:33], v[6:7]
	v_mul_f64 v[6:7], v[30:31], v[6:7]
	;; [unrolled: 3-line block ×5, first 2 shown]
	v_fmac_f64_e32 v[80:81], v[26:27], v[0:1]
	v_fma_f64 v[2:3], v[0:1], v[28:29], -v[2:3]
	v_fmac_f64_e32 v[82:83], v[30:31], v[4:5]
	v_fma_f64 v[6:7], v[4:5], v[32:33], -v[6:7]
	;; [unrolled: 2-line block ×5, first 2 shown]
	v_mul_f64 v[0:1], v[80:81], s[0:1]
	v_mul_f64 v[2:3], v[2:3], s[0:1]
	;; [unrolled: 1-line block ×10, first 2 shown]
	global_store_dwordx4 v[70:71], v[0:3], off
	global_store_dwordx4 v[72:73], v[4:7], off
	;; [unrolled: 1-line block ×5, first 2 shown]
	s_waitcnt vmcnt(10) lgkmcnt(0)
	v_mul_f64 v[0:1], v[52:53], v[24:25]
	v_mul_f64 v[2:3], v[50:51], v[24:25]
	ds_read_b128 v[4:7], v16 offset:2016
	v_fmac_f64_e32 v[0:1], v[50:51], v[22:23]
	v_fma_f64 v[2:3], v[22:23], v[52:53], -v[2:3]
	v_mad_u64_u32 v[12:13], s[2:3], s4, v17, v[78:79]
	v_mul_f64 v[0:1], v[0:1], s[0:1]
	v_mul_f64 v[2:3], v[2:3], s[0:1]
	v_add_u32_e32 v13, s6, v13
	global_store_dwordx4 v[12:13], v[0:3], off
	ds_read_b128 v[0:3], v16 offset:2352
	s_waitcnt vmcnt(10) lgkmcnt(1)
	v_mul_f64 v[8:9], v[6:7], v[36:37]
	v_fmac_f64_e32 v[8:9], v[4:5], v[34:35]
	v_mul_f64 v[4:5], v[4:5], v[36:37]
	v_fma_f64 v[4:5], v[34:35], v[6:7], -v[4:5]
	v_mul_f64 v[10:11], v[4:5], s[0:1]
	s_waitcnt vmcnt(9) lgkmcnt(0)
	v_mul_f64 v[4:5], v[2:3], v[56:57]
	v_fmac_f64_e32 v[4:5], v[0:1], v[54:55]
	v_mul_f64 v[0:1], v[0:1], v[56:57]
	v_mad_u64_u32 v[12:13], s[2:3], s4, v17, v[12:13]
	v_fma_f64 v[0:1], v[54:55], v[2:3], -v[0:1]
	v_mul_f64 v[8:9], v[8:9], s[0:1]
	v_add_u32_e32 v13, s6, v13
	v_mul_f64 v[6:7], v[0:1], s[0:1]
	ds_read_b128 v[0:3], v16 offset:2688
	global_store_dwordx4 v[12:13], v[8:11], off
	v_mad_u64_u32 v[12:13], s[2:3], s4, v17, v[12:13]
	v_mul_f64 v[4:5], v[4:5], s[0:1]
	v_add_u32_e32 v13, s6, v13
	global_store_dwordx4 v[12:13], v[4:7], off
	ds_read_b128 v[4:7], v16 offset:3024
	s_waitcnt vmcnt(10) lgkmcnt(1)
	v_mul_f64 v[8:9], v[2:3], v[60:61]
	v_fmac_f64_e32 v[8:9], v[0:1], v[58:59]
	v_mul_f64 v[0:1], v[0:1], v[60:61]
	v_fma_f64 v[0:1], v[58:59], v[2:3], -v[0:1]
	v_mul_f64 v[10:11], v[0:1], s[0:1]
	s_waitcnt vmcnt(9) lgkmcnt(0)
	v_mul_f64 v[0:1], v[6:7], v[64:65]
	v_mul_f64 v[2:3], v[4:5], v[64:65]
	v_fmac_f64_e32 v[0:1], v[4:5], v[62:63]
	v_fma_f64 v[2:3], v[62:63], v[6:7], -v[2:3]
	ds_read_b128 v[4:7], v16 offset:3360
	v_mad_u64_u32 v[12:13], s[2:3], s4, v17, v[12:13]
	v_mul_f64 v[8:9], v[8:9], s[0:1]
	v_add_u32_e32 v13, s6, v13
	global_store_dwordx4 v[12:13], v[8:11], off
	v_mul_f64 v[0:1], v[0:1], s[0:1]
	v_mul_f64 v[2:3], v[2:3], s[0:1]
	v_mad_u64_u32 v[8:9], s[2:3], s4, v17, v[12:13]
	v_add_u32_e32 v9, s6, v9
	global_store_dwordx4 v[8:9], v[0:3], off
	s_waitcnt vmcnt(10) lgkmcnt(0)
	s_nop 0
	v_mul_f64 v[0:1], v[6:7], v[68:69]
	v_mul_f64 v[2:3], v[4:5], v[68:69]
	v_fmac_f64_e32 v[0:1], v[4:5], v[66:67]
	v_fma_f64 v[2:3], v[66:67], v[6:7], -v[2:3]
	v_mul_f64 v[0:1], v[0:1], s[0:1]
	v_mul_f64 v[2:3], v[2:3], s[0:1]
	v_mad_u64_u32 v[4:5], s[0:1], s4, v17, v[8:9]
	v_add_u32_e32 v5, s6, v5
	global_store_dwordx4 v[4:5], v[0:3], off
.LBB0_23:
	s_endpgm
	.section	.rodata,"a",@progbits
	.p2align	6, 0x0
	.amdhsa_kernel bluestein_single_fwd_len231_dim1_dp_op_CI_CI
		.amdhsa_group_segment_fixed_size 25872
		.amdhsa_private_segment_fixed_size 0
		.amdhsa_kernarg_size 104
		.amdhsa_user_sgpr_count 2
		.amdhsa_user_sgpr_dispatch_ptr 0
		.amdhsa_user_sgpr_queue_ptr 0
		.amdhsa_user_sgpr_kernarg_segment_ptr 1
		.amdhsa_user_sgpr_dispatch_id 0
		.amdhsa_user_sgpr_kernarg_preload_length 0
		.amdhsa_user_sgpr_kernarg_preload_offset 0
		.amdhsa_user_sgpr_private_segment_size 0
		.amdhsa_uses_dynamic_stack 0
		.amdhsa_enable_private_segment 0
		.amdhsa_system_sgpr_workgroup_id_x 1
		.amdhsa_system_sgpr_workgroup_id_y 0
		.amdhsa_system_sgpr_workgroup_id_z 0
		.amdhsa_system_sgpr_workgroup_info 0
		.amdhsa_system_vgpr_workitem_id 0
		.amdhsa_next_free_vgpr 261
		.amdhsa_next_free_sgpr 40
		.amdhsa_accum_offset 256
		.amdhsa_reserve_vcc 1
		.amdhsa_float_round_mode_32 0
		.amdhsa_float_round_mode_16_64 0
		.amdhsa_float_denorm_mode_32 3
		.amdhsa_float_denorm_mode_16_64 3
		.amdhsa_dx10_clamp 1
		.amdhsa_ieee_mode 1
		.amdhsa_fp16_overflow 0
		.amdhsa_tg_split 0
		.amdhsa_exception_fp_ieee_invalid_op 0
		.amdhsa_exception_fp_denorm_src 0
		.amdhsa_exception_fp_ieee_div_zero 0
		.amdhsa_exception_fp_ieee_overflow 0
		.amdhsa_exception_fp_ieee_underflow 0
		.amdhsa_exception_fp_ieee_inexact 0
		.amdhsa_exception_int_div_zero 0
	.end_amdhsa_kernel
	.text
.Lfunc_end0:
	.size	bluestein_single_fwd_len231_dim1_dp_op_CI_CI, .Lfunc_end0-bluestein_single_fwd_len231_dim1_dp_op_CI_CI
                                        ; -- End function
	.section	.AMDGPU.csdata,"",@progbits
; Kernel info:
; codeLenInByte = 12536
; NumSgprs: 46
; NumVgprs: 256
; NumAgprs: 5
; TotalNumVgprs: 261
; ScratchSize: 0
; MemoryBound: 0
; FloatMode: 240
; IeeeMode: 1
; LDSByteSize: 25872 bytes/workgroup (compile time only)
; SGPRBlocks: 5
; VGPRBlocks: 32
; NumSGPRsForWavesPerEU: 46
; NumVGPRsForWavesPerEU: 261
; AccumOffset: 256
; Occupancy: 1
; WaveLimiterHint : 1
; COMPUTE_PGM_RSRC2:SCRATCH_EN: 0
; COMPUTE_PGM_RSRC2:USER_SGPR: 2
; COMPUTE_PGM_RSRC2:TRAP_HANDLER: 0
; COMPUTE_PGM_RSRC2:TGID_X_EN: 1
; COMPUTE_PGM_RSRC2:TGID_Y_EN: 0
; COMPUTE_PGM_RSRC2:TGID_Z_EN: 0
; COMPUTE_PGM_RSRC2:TIDIG_COMP_CNT: 0
; COMPUTE_PGM_RSRC3_GFX90A:ACCUM_OFFSET: 63
; COMPUTE_PGM_RSRC3_GFX90A:TG_SPLIT: 0
	.text
	.p2alignl 6, 3212836864
	.fill 256, 4, 3212836864
	.type	__hip_cuid_e22c4a12ec1b5f47,@object ; @__hip_cuid_e22c4a12ec1b5f47
	.section	.bss,"aw",@nobits
	.globl	__hip_cuid_e22c4a12ec1b5f47
__hip_cuid_e22c4a12ec1b5f47:
	.byte	0                               ; 0x0
	.size	__hip_cuid_e22c4a12ec1b5f47, 1

	.ident	"AMD clang version 19.0.0git (https://github.com/RadeonOpenCompute/llvm-project roc-6.4.0 25133 c7fe45cf4b819c5991fe208aaa96edf142730f1d)"
	.section	".note.GNU-stack","",@progbits
	.addrsig
	.addrsig_sym __hip_cuid_e22c4a12ec1b5f47
	.amdgpu_metadata
---
amdhsa.kernels:
  - .agpr_count:     5
    .args:
      - .actual_access:  read_only
        .address_space:  global
        .offset:         0
        .size:           8
        .value_kind:     global_buffer
      - .actual_access:  read_only
        .address_space:  global
        .offset:         8
        .size:           8
        .value_kind:     global_buffer
      - .actual_access:  read_only
        .address_space:  global
        .offset:         16
        .size:           8
        .value_kind:     global_buffer
      - .actual_access:  read_only
        .address_space:  global
        .offset:         24
        .size:           8
        .value_kind:     global_buffer
      - .actual_access:  read_only
        .address_space:  global
        .offset:         32
        .size:           8
        .value_kind:     global_buffer
      - .offset:         40
        .size:           8
        .value_kind:     by_value
      - .address_space:  global
        .offset:         48
        .size:           8
        .value_kind:     global_buffer
      - .address_space:  global
        .offset:         56
        .size:           8
        .value_kind:     global_buffer
      - .address_space:  global
        .offset:         64
        .size:           8
        .value_kind:     global_buffer
      - .address_space:  global
        .offset:         72
        .size:           8
        .value_kind:     global_buffer
      - .offset:         80
        .size:           4
        .value_kind:     by_value
      - .address_space:  global
        .offset:         88
        .size:           8
        .value_kind:     global_buffer
      - .address_space:  global
        .offset:         96
        .size:           8
        .value_kind:     global_buffer
    .group_segment_fixed_size: 25872
    .kernarg_segment_align: 8
    .kernarg_segment_size: 104
    .language:       OpenCL C
    .language_version:
      - 2
      - 0
    .max_flat_workgroup_size: 231
    .name:           bluestein_single_fwd_len231_dim1_dp_op_CI_CI
    .private_segment_fixed_size: 0
    .sgpr_count:     46
    .sgpr_spill_count: 0
    .symbol:         bluestein_single_fwd_len231_dim1_dp_op_CI_CI.kd
    .uniform_work_group_size: 1
    .uses_dynamic_stack: false
    .vgpr_count:     261
    .vgpr_spill_count: 0
    .wavefront_size: 64
amdhsa.target:   amdgcn-amd-amdhsa--gfx950
amdhsa.version:
  - 1
  - 2
...

	.end_amdgpu_metadata
